;; amdgpu-corpus repo=ROCm/rocFFT kind=compiled arch=gfx1201 opt=O3
	.text
	.amdgcn_target "amdgcn-amd-amdhsa--gfx1201"
	.amdhsa_code_object_version 6
	.protected	bluestein_single_fwd_len546_dim1_half_op_CI_CI ; -- Begin function bluestein_single_fwd_len546_dim1_half_op_CI_CI
	.globl	bluestein_single_fwd_len546_dim1_half_op_CI_CI
	.p2align	8
	.type	bluestein_single_fwd_len546_dim1_half_op_CI_CI,@function
bluestein_single_fwd_len546_dim1_half_op_CI_CI: ; @bluestein_single_fwd_len546_dim1_half_op_CI_CI
; %bb.0:
	s_load_b128 s[12:15], s[0:1], 0x28
	v_mul_u32_u24_e32 v1, 0x691, v0
	s_mov_b32 s2, exec_lo
	s_delay_alu instid0(VALU_DEP_1) | instskip(NEXT) | instid1(VALU_DEP_1)
	v_lshrrev_b32_e32 v1, 16, v1
	v_mad_co_u64_u32 v[6:7], null, ttmp9, 3, v[1:2]
	v_mov_b32_e32 v7, 0
                                        ; kill: def $vgpr2 killed $sgpr0 killed $exec
	s_wait_kmcnt 0x0
	s_delay_alu instid0(VALU_DEP_1)
	v_cmpx_gt_u64_e64 s[12:13], v[6:7]
	s_cbranch_execz .LBB0_23
; %bb.1:
	s_clause 0x1
	s_load_b128 s[4:7], s[0:1], 0x18
	s_load_b64 s[12:13], s[0:1], 0x0
	v_mul_lo_u16 v1, v1, 39
	s_delay_alu instid0(VALU_DEP_1) | instskip(NEXT) | instid1(VALU_DEP_1)
	v_sub_nc_u16 v9, v0, v1
	v_and_b32_e32 v63, 0xffff, v9
	s_delay_alu instid0(VALU_DEP_1)
	v_lshlrev_b32_e32 v37, 2, v63
	s_wait_kmcnt 0x0
	s_load_b128 s[8:11], s[4:5], 0x0
	s_clause 0x7
	global_load_b32 v68, v37, s[12:13]
	global_load_b32 v66, v37, s[12:13] offset:168
	global_load_b32 v64, v37, s[12:13] offset:336
	;; [unrolled: 1-line block ×7, first 2 shown]
	s_wait_kmcnt 0x0
	v_mad_co_u64_u32 v[0:1], null, s10, v6, 0
	v_mad_co_u64_u32 v[2:3], null, s8, v63, 0
	s_mul_u64 s[2:3], s[8:9], 42
	s_delay_alu instid0(VALU_DEP_1) | instskip(NEXT) | instid1(VALU_DEP_1)
	v_mad_co_u64_u32 v[4:5], null, s11, v6, v[1:2]
	v_mad_co_u64_u32 v[7:8], null, s9, v63, v[3:4]
	v_mov_b32_e32 v1, v4
	s_delay_alu instid0(VALU_DEP_1) | instskip(NEXT) | instid1(VALU_DEP_3)
	v_lshlrev_b64_e32 v[0:1], 2, v[0:1]
	v_mov_b32_e32 v3, v7
	s_delay_alu instid0(VALU_DEP_2) | instskip(NEXT) | instid1(VALU_DEP_2)
	v_add_co_u32 v0, vcc_lo, s14, v0
	v_lshlrev_b64_e32 v[2:3], 2, v[2:3]
	s_delay_alu instid0(VALU_DEP_4) | instskip(SKIP_1) | instid1(VALU_DEP_2)
	v_add_co_ci_u32_e32 v1, vcc_lo, s15, v1, vcc_lo
	s_lshl_b64 s[14:15], s[2:3], 2
	v_add_co_u32 v0, vcc_lo, v0, v2
	s_wait_alu 0xfffd
	s_delay_alu instid0(VALU_DEP_2)
	v_add_co_ci_u32_e32 v1, vcc_lo, v1, v3, vcc_lo
	global_load_b32 v7, v[0:1], off
	s_wait_alu 0xfffe
	v_add_co_u32 v0, vcc_lo, v0, s14
	s_wait_alu 0xfffd
	v_add_co_ci_u32_e32 v1, vcc_lo, s15, v1, vcc_lo
	s_clause 0x4
	global_load_b32 v52, v37, s[12:13] offset:1344
	global_load_b32 v50, v37, s[12:13] offset:1512
	;; [unrolled: 1-line block ×5, first 2 shown]
	v_add_co_u32 v2, vcc_lo, v0, s14
	s_wait_alu 0xfffd
	v_add_co_ci_u32_e32 v3, vcc_lo, s15, v1, vcc_lo
	global_load_b32 v8, v[0:1], off
	v_add_co_u32 v0, vcc_lo, v2, s14
	s_wait_alu 0xfffd
	v_add_co_ci_u32_e32 v1, vcc_lo, s15, v3, vcc_lo
	s_clause 0x1
	global_load_b32 v10, v[2:3], off
	global_load_b32 v11, v[0:1], off
	v_add_co_u32 v0, vcc_lo, v0, s14
	s_wait_alu 0xfffd
	v_add_co_ci_u32_e32 v1, vcc_lo, s15, v1, vcc_lo
	s_delay_alu instid0(VALU_DEP_2) | instskip(SKIP_1) | instid1(VALU_DEP_2)
	v_add_co_u32 v2, vcc_lo, v0, s14
	s_wait_alu 0xfffd
	v_add_co_ci_u32_e32 v3, vcc_lo, s15, v1, vcc_lo
	global_load_b32 v12, v[0:1], off
	v_add_co_u32 v0, vcc_lo, v2, s14
	s_wait_alu 0xfffd
	v_add_co_ci_u32_e32 v1, vcc_lo, s15, v3, vcc_lo
	global_load_b32 v13, v[2:3], off
	global_load_b32 v14, v[0:1], off
	v_add_co_u32 v0, vcc_lo, v0, s14
	s_wait_alu 0xfffd
	v_add_co_ci_u32_e32 v1, vcc_lo, s15, v1, vcc_lo
	s_delay_alu instid0(VALU_DEP_2) | instskip(SKIP_1) | instid1(VALU_DEP_2)
	v_add_co_u32 v2, vcc_lo, v0, s14
	s_wait_alu 0xfffd
	v_add_co_ci_u32_e32 v3, vcc_lo, s15, v1, vcc_lo
	global_load_b32 v15, v[0:1], off
	v_add_co_u32 v0, vcc_lo, v2, s14
	s_wait_alu 0xfffd
	v_add_co_ci_u32_e32 v1, vcc_lo, s15, v3, vcc_lo
	global_load_b32 v16, v[2:3], off
	;; [unrolled: 4-line block ×3, first 2 shown]
	v_add_co_u32 v4, vcc_lo, v2, s14
	s_wait_alu 0xfffd
	v_add_co_ci_u32_e32 v5, vcc_lo, s15, v3, vcc_lo
	s_delay_alu instid0(VALU_DEP_2) | instskip(SKIP_1) | instid1(VALU_DEP_2)
	v_add_co_u32 v0, vcc_lo, v4, s14
	s_wait_alu 0xfffd
	v_add_co_ci_u32_e32 v1, vcc_lo, s15, v5, vcc_lo
	global_load_b32 v3, v[2:3], off
	global_load_b32 v18, v[4:5], off
	;; [unrolled: 1-line block ×3, first 2 shown]
	v_mul_hi_u32 v2, 0xaaaaaaab, v6
	s_load_b64 s[10:11], s[0:1], 0x38
	s_load_b128 s[4:7], s[6:7], 0x0
	v_add_co_u32 v4, s2, s12, v37
	s_delay_alu instid0(VALU_DEP_1) | instskip(SKIP_1) | instid1(VALU_DEP_4)
	v_add_co_ci_u32_e64 v5, null, s13, 0, s2
	v_cmp_gt_u16_e32 vcc_lo, 3, v9
	v_lshrrev_b32_e32 v2, 1, v2
	s_delay_alu instid0(VALU_DEP_1) | instskip(NEXT) | instid1(VALU_DEP_1)
	v_lshl_add_u32 v2, v2, 1, v2
	v_sub_nc_u32_e32 v2, v6, v2
	s_delay_alu instid0(VALU_DEP_1) | instskip(NEXT) | instid1(VALU_DEP_1)
	v_mul_u32_u24_e32 v2, 0x222, v2
	v_lshlrev_b32_e32 v71, 2, v2
	s_delay_alu instid0(VALU_DEP_1) | instskip(NEXT) | instid1(VALU_DEP_1)
	v_add_nc_u32_e32 v43, v37, v71
	v_add_nc_u32_e32 v2, 0x200, v43
	s_wait_loadcnt 0x19
	v_lshrrev_b32_e32 v70, 16, v68
	s_wait_loadcnt 0x18
	v_lshrrev_b32_e32 v69, 16, v66
	;; [unrolled: 2-line block ×9, first 2 shown]
	v_mul_f16_e32 v21, v70, v7
	s_wait_loadcnt 0x10
	v_lshrrev_b32_e32 v53, 16, v52
	s_wait_loadcnt 0xf
	v_lshrrev_b32_e32 v51, 16, v50
	;; [unrolled: 2-line block ×3, first 2 shown]
	v_mul_f16_e32 v22, v70, v20
	v_fma_f16 v20, v68, v20, -v21
	s_wait_loadcnt 0xd
	v_lshrrev_b32_e32 v47, 16, v45
	s_wait_loadcnt 0xc
	v_lshrrev_b32_e32 v46, 16, v44
	;; [unrolled: 2-line block ×3, first 2 shown]
	v_mul_f16_e32 v24, v69, v8
	v_fmac_f16_e32 v22, v68, v7
	s_delay_alu instid0(VALU_DEP_3)
	v_mul_f16_e32 v7, v69, v23
	s_wait_loadcnt 0xa
	v_lshrrev_b32_e32 v21, 16, v10
	v_fma_f16 v23, v66, v23, -v24
	v_mul_f16_e32 v24, v67, v10
	v_pack_b32_f16 v20, v22, v20
	v_fmac_f16_e32 v7, v66, v8
	v_mul_f16_e32 v8, v67, v21
	s_wait_loadcnt 0x9
	v_lshrrev_b32_e32 v22, 16, v11
	v_mul_f16_e32 v25, v65, v11
	v_fma_f16 v21, v64, v21, -v24
	v_pack_b32_f16 v7, v7, v23
	v_fmac_f16_e32 v8, v64, v10
	v_mul_f16_e32 v10, v65, v22
	s_wait_loadcnt 0x8
	v_lshrrev_b32_e32 v23, 16, v12
	v_fma_f16 v22, v61, v22, -v25
	v_mul_f16_e32 v24, v62, v12
	ds_store_2addr_b32 v43, v20, v7 offset1:42
	v_pack_b32_f16 v7, v8, v21
	v_fmac_f16_e32 v10, v61, v11
	v_mul_f16_e32 v8, v62, v23
	s_wait_loadcnt 0x7
	v_lshrrev_b32_e32 v11, 16, v13
	v_mul_f16_e32 v20, v60, v13
	v_fma_f16 v21, v59, v23, -v24
	v_pack_b32_f16 v10, v10, v22
	v_fmac_f16_e32 v8, v59, v12
	v_mul_f16_e32 v12, v60, v11
	v_fma_f16 v11, v58, v11, -v20
	s_wait_loadcnt 0x6
	v_lshrrev_b32_e32 v20, 16, v14
	v_mul_f16_e32 v22, v57, v14
	ds_store_2addr_b32 v43, v7, v10 offset0:84 offset1:126
	v_pack_b32_f16 v7, v8, v21
	v_fmac_f16_e32 v12, v58, v13
	v_mul_f16_e32 v8, v57, v20
	s_wait_loadcnt 0x5
	v_lshrrev_b32_e32 v10, 16, v15
	v_mul_f16_e32 v13, v56, v15
	v_fma_f16 v20, v55, v20, -v22
	v_pack_b32_f16 v11, v12, v11
	v_fmac_f16_e32 v8, v55, v14
	v_mul_f16_e32 v12, v56, v10
	v_fma_f16 v10, v54, v10, -v13
	s_wait_loadcnt 0x4
	v_lshrrev_b32_e32 v13, 16, v16
	v_mul_f16_e32 v14, v53, v16
	ds_store_2addr_b32 v43, v7, v11 offset0:168 offset1:210
	v_pack_b32_f16 v7, v8, v20
	v_fmac_f16_e32 v12, v54, v15
	v_mul_f16_e32 v8, v53, v13
	s_wait_loadcnt 0x3
	v_lshrrev_b32_e32 v11, 16, v17
	v_mul_f16_e32 v15, v51, v17
	v_fma_f16 v13, v52, v13, -v14
	v_pack_b32_f16 v10, v12, v10
	v_fmac_f16_e32 v8, v52, v16
	v_mul_f16_e32 v12, v51, v11
	v_fma_f16 v11, v50, v11, -v15
	s_wait_loadcnt 0x2
	v_lshrrev_b32_e32 v14, 16, v3
	v_mul_f16_e32 v15, v49, v3
	v_pack_b32_f16 v8, v8, v13
	s_wait_loadcnt 0x1
	v_lshrrev_b32_e32 v13, 16, v18
	s_wait_loadcnt 0x0
	v_lshrrev_b32_e32 v16, 16, v19
	v_fmac_f16_e32 v12, v50, v17
	v_mul_f16_e32 v17, v49, v14
	v_fma_f16 v14, v48, v14, -v15
	v_mul_f16_e32 v15, v47, v18
	v_mul_f16_e32 v20, v47, v13
	;; [unrolled: 1-line block ×4, first 2 shown]
	v_fmac_f16_e32 v17, v48, v3
	v_fma_f16 v3, v45, v13, -v15
	v_fmac_f16_e32 v20, v45, v18
	v_fmac_f16_e32 v21, v44, v19
	v_fma_f16 v15, v44, v16, -v22
	v_add_nc_u32_e32 v13, 0x400, v43
	v_pack_b32_f16 v11, v12, v11
	v_pack_b32_f16 v12, v17, v14
	;; [unrolled: 1-line block ×4, first 2 shown]
	ds_store_2addr_b32 v2, v7, v10 offset0:124 offset1:166
	ds_store_2addr_b32 v13, v8, v11 offset0:80 offset1:122
	;; [unrolled: 1-line block ×3, first 2 shown]
	ds_store_b32 v43, v14 offset:2016
	s_and_saveexec_b32 s3, vcc_lo
	s_cbranch_execz .LBB0_3
; %bb.2:
	v_mad_co_u64_u32 v[0:1], null, 0xfffff8bc, s8, v[0:1]
	s_mul_i32 s2, s9, 0xfffff8bc
	s_wait_alu 0xfffe
	s_sub_co_i32 s2, s2, s8
	s_wait_alu 0xfffe
	s_delay_alu instid0(VALU_DEP_1) | instskip(NEXT) | instid1(VALU_DEP_2)
	v_add_nc_u32_e32 v1, s2, v1
	v_add_co_u32 v7, s2, v0, s14
	s_wait_alu 0xf1ff
	s_delay_alu instid0(VALU_DEP_2)
	v_add_co_ci_u32_e64 v8, s2, s15, v1, s2
	s_clause 0x7
	global_load_b32 v3, v[4:5], off offset:156
	global_load_b32 v11, v[4:5], off offset:324
	;; [unrolled: 1-line block ×8, first 2 shown]
	global_load_b32 v19, v[0:1], off
	global_load_b32 v20, v[7:8], off
	s_clause 0x3
	global_load_b32 v21, v[4:5], off offset:1500
	global_load_b32 v22, v[4:5], off offset:1668
	;; [unrolled: 1-line block ×4, first 2 shown]
	v_add_co_u32 v0, s2, v7, s14
	s_wait_alu 0xf1ff
	v_add_co_ci_u32_e64 v1, s2, s15, v8, s2
	global_load_b32 v25, v[4:5], off offset:2172
	v_add_co_u32 v7, s2, v0, s14
	s_wait_alu 0xf1ff
	v_add_co_ci_u32_e64 v8, s2, s15, v1, s2
	global_load_b32 v26, v[0:1], off
	global_load_b32 v27, v[7:8], off
	v_add_co_u32 v0, s2, v7, s14
	s_wait_alu 0xf1ff
	v_add_co_ci_u32_e64 v1, s2, s15, v8, s2
	s_delay_alu instid0(VALU_DEP_2) | instskip(SKIP_1) | instid1(VALU_DEP_2)
	v_add_co_u32 v7, s2, v0, s14
	s_wait_alu 0xf1ff
	v_add_co_ci_u32_e64 v8, s2, s15, v1, s2
	global_load_b32 v28, v[0:1], off
	global_load_b32 v29, v[7:8], off
	v_add_co_u32 v0, s2, v7, s14
	s_wait_alu 0xf1ff
	v_add_co_ci_u32_e64 v1, s2, s15, v8, s2
	s_delay_alu instid0(VALU_DEP_2) | instskip(SKIP_1) | instid1(VALU_DEP_2)
	v_add_co_u32 v7, s2, v0, s14
	s_wait_alu 0xf1ff
	v_add_co_ci_u32_e64 v8, s2, s15, v1, s2
	global_load_b32 v30, v[0:1], off
	v_add_co_u32 v0, s2, v7, s14
	s_wait_alu 0xf1ff
	v_add_co_ci_u32_e64 v1, s2, s15, v8, s2
	global_load_b32 v31, v[7:8], off
	v_add_co_u32 v7, s2, v0, s14
	s_wait_alu 0xf1ff
	v_add_co_ci_u32_e64 v8, s2, s15, v1, s2
	global_load_b32 v32, v[0:1], off
	v_add_co_u32 v0, s2, v7, s14
	s_wait_alu 0xf1ff
	v_add_co_ci_u32_e64 v1, s2, s15, v8, s2
	global_load_b32 v33, v[7:8], off
	v_add_co_u32 v7, s2, v0, s14
	s_wait_alu 0xf1ff
	v_add_co_ci_u32_e64 v8, s2, s15, v1, s2
	s_delay_alu instid0(VALU_DEP_2) | instskip(SKIP_1) | instid1(VALU_DEP_2)
	v_add_co_u32 v9, s2, v7, s14
	s_wait_alu 0xf1ff
	v_add_co_ci_u32_e64 v10, s2, s15, v8, s2
	global_load_b32 v0, v[0:1], off
	global_load_b32 v1, v[7:8], off
	;; [unrolled: 1-line block ×3, first 2 shown]
	s_wait_loadcnt 0x19
	v_lshrrev_b32_e32 v8, 16, v3
	s_wait_loadcnt 0x18
	v_lshrrev_b32_e32 v9, 16, v11
	s_wait_loadcnt 0x17
	v_lshrrev_b32_e32 v10, 16, v12
	s_wait_loadcnt 0x16
	v_lshrrev_b32_e32 v34, 16, v14
	s_wait_loadcnt 0x15
	v_lshrrev_b32_e32 v35, 16, v15
	s_wait_loadcnt 0x14
	v_lshrrev_b32_e32 v36, 16, v16
	s_wait_loadcnt 0x13
	v_lshrrev_b32_e32 v38, 16, v17
	s_wait_loadcnt 0x12
	v_lshrrev_b32_e32 v39, 16, v18
	s_wait_loadcnt 0x11
	v_lshrrev_b32_e32 v41, 16, v19
	v_mul_f16_e32 v74, v8, v19
	s_wait_loadcnt 0x10
	v_lshrrev_b32_e32 v75, 16, v20
	v_mul_f16_e32 v77, v9, v20
	s_wait_loadcnt 0xf
	v_lshrrev_b32_e32 v40, 16, v21
	v_mul_f16_e32 v8, v8, v41
	v_fma_f16 v41, v3, v41, -v74
	s_wait_loadcnt 0xe
	v_lshrrev_b32_e32 v42, 16, v22
	s_wait_loadcnt 0xd
	v_lshrrev_b32_e32 v72, 16, v23
	;; [unrolled: 2-line block ×3, first 2 shown]
	v_fmac_f16_e32 v8, v3, v19
	v_mul_f16_e32 v3, v9, v75
	v_fma_f16 v19, v11, v75, -v77
	s_wait_loadcnt 0xb
	v_lshrrev_b32_e32 v76, 16, v25
	v_pack_b32_f16 v8, v8, v41
	s_wait_loadcnt 0xa
	v_lshrrev_b32_e32 v9, 16, v26
	v_mul_f16_e32 v74, v10, v26
	v_fmac_f16_e32 v3, v11, v20
	s_wait_loadcnt 0x9
	v_lshrrev_b32_e32 v11, 16, v27
	v_mul_f16_e32 v20, v34, v27
	v_mul_f16_e32 v10, v10, v9
	v_fma_f16 v9, v12, v9, -v74
	v_pack_b32_f16 v3, v3, v19
	s_delay_alu instid0(VALU_DEP_3)
	v_fmac_f16_e32 v10, v12, v26
	v_mul_f16_e32 v12, v34, v11
	s_wait_loadcnt 0x8
	v_lshrrev_b32_e32 v19, 16, v28
	v_fma_f16 v11, v14, v11, -v20
	v_mul_f16_e32 v20, v35, v28
	ds_store_2addr_b32 v43, v8, v3 offset0:39 offset1:81
	v_pack_b32_f16 v3, v10, v9
	v_fmac_f16_e32 v12, v14, v27
	v_mul_f16_e32 v8, v35, v19
	s_wait_loadcnt 0x7
	v_lshrrev_b32_e32 v9, 16, v29
	v_mul_f16_e32 v10, v36, v29
	v_fma_f16 v14, v15, v19, -v20
	v_pack_b32_f16 v11, v12, v11
	v_fmac_f16_e32 v8, v15, v28
	v_mul_f16_e32 v12, v36, v9
	v_fma_f16 v9, v16, v9, -v10
	s_wait_loadcnt 0x6
	v_lshrrev_b32_e32 v10, 16, v30
	v_mul_f16_e32 v15, v38, v30
	ds_store_2addr_b32 v43, v3, v11 offset0:123 offset1:165
	v_pack_b32_f16 v3, v8, v14
	v_fmac_f16_e32 v12, v16, v29
	v_mul_f16_e32 v8, v38, v10
	s_wait_loadcnt 0x5
	v_lshrrev_b32_e32 v11, 16, v31
	v_mul_f16_e32 v14, v39, v31
	v_fma_f16 v10, v17, v10, -v15
	v_pack_b32_f16 v9, v12, v9
	v_fmac_f16_e32 v8, v17, v30
	v_mul_f16_e32 v12, v39, v11
	v_fma_f16 v11, v18, v11, -v14
	s_wait_loadcnt 0x4
	v_lshrrev_b32_e32 v14, 16, v32
	v_mul_f16_e32 v15, v40, v32
	v_pack_b32_f16 v8, v8, v10
	v_fmac_f16_e32 v12, v18, v31
	s_wait_loadcnt 0x3
	v_lshrrev_b32_e32 v10, 16, v33
	v_mul_f16_e32 v17, v42, v33
	v_mul_f16_e32 v16, v40, v14
	v_fma_f16 v14, v21, v14, -v15
	v_pack_b32_f16 v11, v12, v11
	v_mul_f16_e32 v12, v42, v10
	v_fma_f16 v10, v22, v10, -v17
	s_wait_loadcnt 0x2
	v_lshrrev_b32_e32 v15, 16, v0
	v_mul_f16_e32 v17, v72, v0
	s_wait_loadcnt 0x1
	v_lshrrev_b32_e32 v18, 16, v1
	s_wait_loadcnt 0x0
	v_lshrrev_b32_e32 v19, 16, v7
	v_fmac_f16_e32 v16, v21, v32
	v_mul_f16_e32 v20, v72, v15
	v_fma_f16 v15, v23, v15, -v17
	v_mul_f16_e32 v17, v73, v1
	v_mul_f16_e32 v21, v73, v18
	v_fmac_f16_e32 v12, v22, v33
	v_mul_f16_e32 v22, v76, v19
	v_mul_f16_e32 v26, v76, v7
	v_fmac_f16_e32 v20, v23, v0
	v_fma_f16 v0, v24, v18, -v17
	v_fmac_f16_e32 v21, v24, v1
	v_fmac_f16_e32 v22, v25, v7
	v_fma_f16 v1, v25, v19, -v26
	v_pack_b32_f16 v7, v16, v14
	v_pack_b32_f16 v10, v12, v10
	;; [unrolled: 1-line block ×5, first 2 shown]
	ds_store_2addr_b32 v43, v3, v9 offset0:207 offset1:249
	ds_store_2addr_b32 v13, v8, v11 offset0:35 offset1:77
	;; [unrolled: 1-line block ×4, first 2 shown]
	ds_store_b32 v43, v1 offset:2172
.LBB0_3:
	s_wait_alu 0xfffe
	s_or_b32 exec_lo, exec_lo, s3
	global_wb scope:SCOPE_SE
	s_wait_dscnt 0x0
	s_wait_kmcnt 0x0
	s_barrier_signal -1
	s_barrier_wait -1
	global_inv scope:SCOPE_SE
	ds_load_2addr_b32 v[0:1], v43 offset1:42
	ds_load_2addr_b32 v[11:12], v43 offset0:84 offset1:126
	ds_load_2addr_b32 v[7:8], v43 offset0:168 offset1:210
	;; [unrolled: 1-line block ×5, first 2 shown]
	ds_load_b32 v29, v43 offset:2016
	v_mov_b32_e32 v15, 0
                                        ; kill: def $vgpr16 killed $sgpr0 killed $exec
                                        ; implicit-def: $vgpr18
                                        ; implicit-def: $vgpr21
                                        ; implicit-def: $vgpr24
                                        ; implicit-def: $vgpr19
                                        ; implicit-def: $vgpr26
                                        ; implicit-def: $vgpr27
	s_and_saveexec_b32 s2, vcc_lo
	s_cbranch_execz .LBB0_5
; %bb.4:
	v_add_nc_u32_e32 v19, 0x400, v43
	ds_load_2addr_b32 v[15:16], v43 offset0:39 offset1:81
	ds_load_2addr_b32 v[25:26], v43 offset0:123 offset1:165
	;; [unrolled: 1-line block ×6, first 2 shown]
	ds_load_b32 v27, v43 offset:2172
.LBB0_5:
	s_wait_alu 0xfffe
	s_or_b32 exec_lo, exec_lo, s2
	s_wait_dscnt 0x0
	v_pk_add_f16 v39, v16, v27 neg_lo:[0,1] neg_hi:[0,1]
	v_pk_add_f16 v28, v27, v16
	v_pk_add_f16 v16, v16, v15
	v_pk_add_f16 v82, v25, v20 neg_lo:[0,1] neg_hi:[0,1]
	v_pk_add_f16 v103, v26, v19 neg_lo:[0,1] neg_hi:[0,1]
	v_mul_f16_e32 v32, 0xba95, v39
	v_lshrrev_b32_e32 v33, 16, v28
	v_lshrrev_b32_e32 v31, 16, v39
	v_mul_f16_e32 v34, 0xbbf1, v39
	v_pk_add_f16 v16, v25, v16
	v_lshrrev_b32_e32 v86, 16, v82
	v_fmamk_f16 v73, v33, 0x388b, v32
	v_fma_f16 v74, v33, 0x388b, -v32
	v_mul_f16_e32 v32, 0xbb7b, v39
	v_mul_f16_e32 v35, 0xb770, v31
	;; [unrolled: 1-line block ×5, first 2 shown]
	v_fmamk_f16 v77, v33, 0x2fb7, v34
	v_fma_f16 v78, v33, 0x2fb7, -v34
	v_fmamk_f16 v80, v33, 0xb5ac, v32
	v_mul_f16_e32 v81, 0xb94e, v31
	v_mul_f16_e32 v31, 0xb94e, v39
	v_fma_f16 v83, v33, 0xb5ac, -v32
	v_mul_f16_e32 v34, 0xb3a8, v39
	v_pk_add_f16 v32, v20, v25
	v_pk_add_f16 v16, v26, v16
	v_fmamk_f16 v85, v33, 0xb9fd, v31
	v_fma_f16 v87, v33, 0xb9fd, -v31
	v_fmamk_f16 v31, v33, 0xbbc4, v34
	v_fma_f16 v89, v33, 0xbbc4, -v34
	v_lshrrev_b32_e32 v91, 16, v32
	v_mul_f16_e32 v33, 0xbb7b, v82
	v_pk_add_f16 v16, v23, v16
	v_fmamk_f16 v41, v28, 0x3b15, v35
	v_fma_f16 v42, v28, 0x388b, -v40
	v_fmac_f16_e32 v40, 0x388b, v28
	v_mul_f16_e32 v88, 0xba95, v86
	v_mul_f16_e32 v90, 0xbb7b, v86
	v_fmamk_f16 v95, v91, 0xb5ac, v33
	v_mul_f16_e32 v34, 0xb3a8, v82
	v_fma_f16 v96, v91, 0xb5ac, -v33
	v_mul_f16_e32 v33, 0x394e, v82
	v_lshrrev_b32_e32 v106, 16, v103
	v_pk_add_f16 v119, v21, v24
	v_pk_add_f16 v120, v24, v21 neg_lo:[0,1] neg_hi:[0,1]
	v_pk_add_f16 v16, v24, v16
	v_lshrrev_b32_e32 v24, 16, v15
	v_fma_f16 v75, v28, 0x2fb7, -v72
	v_fmac_f16_e32 v72, 0x2fb7, v28
	v_fma_f16 v79, v28, 0xb5ac, -v76
	v_fmac_f16_e32 v76, 0xb5ac, v28
	v_fma_f16 v84, v28, 0xb9fd, -v81
	v_fma_f16 v92, v32, 0x388b, -v88
	v_fmac_f16_e32 v88, 0x388b, v32
	v_fma_f16 v93, v32, 0xb5ac, -v90
	v_mul_f16_e32 v94, 0xb3a8, v86
	v_fmac_f16_e32 v90, 0xb5ac, v32
	v_mul_f16_e32 v98, 0x394e, v86
	v_fmamk_f16 v99, v91, 0xbbc4, v34
	v_fma_f16 v100, v91, 0xbbc4, -v34
	v_fmamk_f16 v102, v91, 0xb9fd, v33
	v_mul_f16_e32 v86, 0x3bf1, v86
	v_mul_f16_e32 v34, 0x3bf1, v82
	v_fma_f16 v104, v91, 0xb9fd, -v33
	v_mul_f16_e32 v33, 0x3770, v82
	v_pk_add_f16 v108, v19, v26
	v_mul_f16_e32 v112, 0xb3a8, v106
	v_pk_add_f16 v118, v22, v23
	v_pk_add_f16 v23, v23, v22 neg_lo:[0,1] neg_hi:[0,1]
	v_add_f16_e32 v41, v41, v15
	v_add_f16_e32 v77, v77, v24
	;; [unrolled: 1-line block ×3, first 2 shown]
	v_fmac_f16_e32 v81, 0xb9fd, v28
	v_fma_f16 v97, v32, 0xbbc4, -v94
	v_fmac_f16_e32 v94, 0xbbc4, v32
	v_fma_f16 v101, v32, 0xb9fd, -v98
	;; [unrolled: 2-line block ×3, first 2 shown]
	v_fmamk_f16 v107, v91, 0x2fb7, v34
	v_mul_f16_e32 v109, 0xbbf1, v106
	v_fma_f16 v110, v91, 0x2fb7, -v34
	v_mul_f16_e32 v34, 0x3b15, v91
	v_fma_f16 v91, v91, 0x3b15, -v33
	v_lshrrev_b32_e32 v113, 16, v108
	v_mul_f16_e32 v114, 0xb3a8, v103
	v_fma_f16 v25, v108, 0xbbc4, -v112
	v_mul_f16_e32 v115, 0x3b7b, v106
	v_fmac_f16_e32 v112, 0xbbc4, v108
	v_mul_f16_e32 v117, 0x3b7b, v103
	v_add_f16_e32 v73, v73, v24
	v_add_f16_e32 v74, v74, v24
	;; [unrolled: 1-line block ×8, first 2 shown]
	v_mul_f16_e32 v89, 0x3770, v106
	v_add_f16_e32 v41, v88, v41
	v_mul_f16_e32 v88, 0x3770, v103
	v_mul_f16_e32 v106, 0xba95, v106
	v_add_f16_e32 v40, v90, v40
	v_add_f16_e32 v72, v72, v15
	v_add_f16_e32 v77, v99, v77
	v_lshrrev_b32_e32 v99, 16, v23
	v_add_f16_e32 v76, v76, v15
	v_add_f16_e32 v84, v84, v15
	v_fmac_f16_e32 v86, 0x2fb7, v32
	v_fmamk_f16 v116, v113, 0xbbc4, v114
	v_fma_f16 v26, v113, 0xbbc4, -v114
	v_fma_f16 v114, v108, 0xb5ac, -v115
	v_fmamk_f16 v121, v113, 0xb5ac, v117
	v_fmac_f16_e32 v115, 0xb5ac, v108
	v_add_f16_e32 v42, v42, v15
	v_fma_f16 v117, v113, 0xb5ac, -v117
	v_add_f16_e32 v73, v95, v73
	v_fmamk_f16 v95, v113, 0x3b15, v88
	v_add_f16_e32 v75, v75, v15
	v_mul_f16_e32 v90, 0xba95, v103
	v_add_f16_e32 v74, v96, v74
	v_fma_f16 v96, v108, 0x388b, -v106
	v_add_f16_e32 v79, v79, v15
	v_add_f16_e32 v72, v94, v72
	v_mul_f16_e32 v94, 0xb94e, v103
	v_add_f16_e32 v78, v100, v78
	v_mul_f16_e32 v100, 0xbb7b, v99
	v_add_f16_e32 v80, v102, v80
	v_add_f16_e32 v76, v98, v76
	v_mul_f16_e32 v98, 0x394e, v99
	v_pk_mul_f16 v39, 0xb3a8b770, v39
	v_add_f16_e32 v81, v81, v15
	v_pk_mul_f16 v82, 0x3770ba95, v82
	v_add_f16_e32 v84, v105, v84
	;; [unrolled: 2-line block ×3, first 2 shown]
	v_mul_f16_e32 v91, 0x3770, v99
	v_add_f16_e32 v40, v112, v40
	v_mul_f16_e32 v112, 0xbbf1, v99
	v_mul_f16_e32 v99, 0x33a8, v99
	v_fma_f16 v111, v108, 0x2fb7, -v109
	v_fmac_f16_e32 v109, 0x2fb7, v108
	v_add_f16_e32 v42, v93, v42
	v_fma_f16 v93, v108, 0x3b15, -v89
	v_fmac_f16_e32 v89, 0x3b15, v108
	v_add_f16_e32 v75, v97, v75
	v_fmamk_f16 v97, v113, 0x388b, v90
	v_fmac_f16_e32 v106, 0x388b, v108
	v_add_f16_e32 v79, v101, v79
	v_add_f16_e32 v83, v104, v83
	v_lshrrev_b32_e32 v104, 16, v118
	v_pk_fma_f16 v105, 0x3b15bbc4, v28, v39 op_sel:[0,0,1] op_sel_hi:[1,1,0] neg_lo:[0,0,1] neg_hi:[0,0,1]
	v_add_f16_e32 v85, v107, v85
	v_pk_fma_f16 v107, 0x388b3b15, v32, v82 op_sel:[0,0,1] op_sel_hi:[1,1,0]
	v_add_f16_e32 v81, v86, v81
	v_pk_fma_f16 v86, 0x2fb7b9fd, v108, v103 op_sel:[0,0,1] op_sel_hi:[1,1,0]
	v_add_f16_e32 v72, v115, v72
	v_mul_f16_e32 v115, 0x33a8, v23
	v_add_f16_e32 v78, v117, v78
	v_fma_f16 v117, v118, 0xbbc4, -v99
	v_add_f16_e32 v80, v95, v80
	v_lshrrev_b32_e32 v95, 16, v120
	v_add_f16_e32 v84, v96, v84
	v_fma_f16 v90, v113, 0x388b, -v90
	v_pk_add_f16 v105, v105, v15
	v_alignbit_b32 v92, v92, v21, 16
	v_alignbit_b32 v111, v111, v22, 16
	;; [unrolled: 1-line block ×4, first 2 shown]
	v_pk_fma_f16 v86, 0x388b3b15, v32, v82 op_sel:[0,0,1] op_sel_hi:[1,1,0] neg_lo:[0,0,1] neg_hi:[0,0,1]
	v_mul_f16_e32 v107, 0x394e, v23
	v_add_f16_e32 v87, v110, v87
	v_add_f16_e32 v41, v109, v41
	v_mul_f16_e32 v109, 0x3770, v23
	v_add_f16_e32 v26, v26, v74
	v_mul_f16_e32 v74, 0xbbf1, v23
	v_add_f16_e32 v79, v93, v79
	v_fmamk_f16 v93, v104, 0xbbc4, v115
	v_fmac_f16_e32 v99, 0xbbc4, v118
	v_add_f16_e32 v76, v89, v76
	v_mul_f16_e32 v89, 0x3a95, v23
	v_mul_f16_e32 v96, 0xb94e, v95
	v_add_f16_e32 v85, v97, v85
	v_add_f16_e32 v81, v106, v81
	v_pk_mul_f16 v122, 0x3a95bb7b, v23
	v_add_f16_e32 v23, v117, v84
	v_pk_mul_f16 v84, 0xbb7bb94e, v120
	v_mul_f16_e32 v36, 0x3b15, v28
	v_fma_f16 v88, v113, 0x3b15, -v88
	v_fma_f16 v102, v118, 0xb5ac, -v100
	v_pk_add_f16 v86, v86, v105
	v_add_f16_e32 v77, v121, v77
	v_fmamk_f16 v121, v104, 0x2fb7, v74
	v_fma_f16 v115, v104, 0xbbc4, -v115
	v_pk_fma_f16 v97, 0x2fb7b9fd, v108, v103 op_sel:[0,0,1] op_sel_hi:[1,1,0] neg_lo:[0,0,1] neg_hi:[0,0,1]
	v_fma_f16 v106, v119, 0xb9fd, -v96
	v_add_f16_e32 v87, v90, v87
	v_add_f16_e32 v85, v93, v85
	v_pk_fma_f16 v93, 0xb5ac388b, v118, v122 op_sel:[0,0,1] op_sel_hi:[1,1,0]
	v_add_f16_e32 v81, v99, v81
	v_pk_fma_f16 v99, 0xb9fdb5ac, v119, v84 op_sel:[0,0,1] op_sel_hi:[1,1,0]
	s_load_b64 s[2:3], s[0:1], 0x8
	v_add_co_u32 v38, s0, v63, 39
	v_fma_f16 v74, v104, 0x2fb7, -v74
	v_add_f16_e32 v83, v88, v83
	v_pk_add_f16 v86, v97, v86
	v_lshrrev_b32_e32 v97, 16, v119
	v_add_f16_e32 v80, v121, v80
	v_mul_f16_e32 v121, 0x3770, v120
	v_alignbit_b32 v102, v102, v19, 16
	v_alignbit_b32 v106, v106, v20, 16
	;; [unrolled: 1-line block ×4, first 2 shown]
	s_wait_alu 0xf1ff
	v_alignbit_b32 v93, s0, v16, 16
	v_alignbit_b32 v99, s0, v17, 16
	v_add_f16_e32 v87, v115, v87
	v_lshlrev_b32_e32 v36, 16, v36
	v_alignbit_b32 v35, v35, v17, 16
	v_pk_mul_f16 v115, 0x3b15bbc4, v28
	v_add_f16_e32 v74, v74, v83
	v_fmamk_f16 v83, v97, 0x3b15, v121
	v_fma_f16 v117, v97, 0x3b15, -v121
	v_pk_add_f16 v93, v93, v99
	v_pk_add_f16 v35, v36, v35 neg_lo:[0,1] neg_hi:[0,1]
	v_alignbit_b32 v16, v16, v115, 16
	v_pk_fma_f16 v121, 0x3b15bbc4, v28, v39 op_sel:[0,0,1] op_sel_hi:[1,1,0]
	v_perm_b32 v28, v17, v39, 0x5040100
	v_fma_f16 v110, v118, 0xb9fd, -v98
	v_fmac_f16_e32 v98, 0xb9fd, v118
	v_pk_add_f16 v99, v17, v18 neg_lo:[0,1] neg_hi:[0,1]
	v_pk_add_f16 v17, v18, v17
	v_bfi_b32 v35, 0xffff, v93, v35
	v_alignbit_b32 v39, v15, v18, 16
	v_pk_add_f16 v16, v28, v16
	v_alignbit_b32 v18, v18, v15, 16
	v_fmamk_f16 v105, v104, 0xb9fd, v107
	v_add_f16_e32 v25, v25, v42
	v_fma_f16 v42, v118, 0x3b15, -v91
	v_add_f16_e32 v73, v116, v73
	v_fmamk_f16 v116, v104, 0x3b15, v109
	v_fmac_f16_e32 v91, 0x3b15, v118
	v_fma_f16 v109, v104, 0x3b15, -v109
	v_add_f16_e32 v75, v114, v75
	v_add_f16_e32 v40, v98, v40
	v_mul_f16_e32 v98, 0xba95, v120
	v_pk_add_f16 v35, v39, v35
	v_pk_add_f16 v16, v16, v18
	v_mul_f16_e32 v101, 0xb9fd, v113
	v_fma_f16 v113, v113, 0xb9fd, -v94
	v_fmac_f16_e32 v100, 0xb5ac, v118
	v_fma_f16 v114, v118, 0x2fb7, -v112
	v_fmac_f16_e32 v112, 0x2fb7, v118
	v_mul_f16_e32 v90, 0x3bf1, v95
	v_add_f16_e32 v73, v105, v73
	v_mul_f16_e32 v105, 0xba95, v95
	v_add_f16_e32 v42, v42, v75
	v_fmamk_f16 v75, v97, 0x388b, v98
	v_add_f16_e32 v77, v116, v77
	v_mul_f16_e32 v116, 0x33a8, v95
	v_add_f16_e32 v72, v91, v72
	v_mul_f16_e32 v91, 0x33a8, v120
	v_fma_f16 v98, v97, 0x388b, -v98
	v_add_f16_e32 v78, v109, v78
	v_mul_f16_e32 v95, 0x3770, v95
	v_lshrrev_b32_e32 v115, 16, v99
	v_pk_add_f16 v35, v92, v35
	v_pk_add_f16 v16, v21, v16
	v_fma_f16 v107, v104, 0xb9fd, -v107
	v_add_f16_e32 v24, v113, v24
	v_mul_f16_e32 v113, 0x3bf1, v120
	v_add_f16_e32 v41, v100, v41
	v_fma_f16 v100, v119, 0x2fb7, -v90
	v_fmac_f16_e32 v90, 0x2fb7, v119
	v_add_f16_e32 v79, v114, v79
	v_fmamk_f16 v114, v97, 0xbbc4, v91
	v_fma_f16 v91, v97, 0xbbc4, -v91
	v_add_f16_e32 v76, v112, v76
	v_fma_f16 v112, v119, 0x3b15, -v95
	v_mul_f16_e32 v123, 0xbb7b, v120
	v_pk_fma_f16 v36, 0xb5ac388b, v118, v122 op_sel:[0,0,1] op_sel_hi:[1,1,0] neg_lo:[0,0,1] neg_hi:[0,0,1]
	v_mul_f16_e32 v28, 0xb3a8, v115
	v_pk_add_f16 v35, v111, v35
	v_pk_add_f16 v16, v22, v16
	v_add_f16_e32 v78, v98, v78
	v_pk_mul_f16 v98, 0x3bf1b3a8, v99
	v_fmac_f16_e32 v96, 0xb9fd, v119
	v_add_f16_e32 v25, v110, v25
	v_fmamk_f16 v110, v97, 0x2fb7, v113
	v_fma_f16 v113, v97, 0x2fb7, -v113
	v_add_f16_e32 v26, v107, v26
	v_fma_f16 v107, v119, 0x388b, -v105
	v_pk_add_f16 v36, v36, v86
	v_mul_f16_e32 v86, 0xb5ac, v97
	v_fma_f16 v93, v97, 0xb5ac, -v123
	v_fma_f16 v39, v17, 0xbbc4, -v28
	v_mul_f16_e32 v97, 0x3770, v115
	v_lshrrev_b32_e32 v18, 16, v17
	v_mul_f16_e32 v22, 0xb94e, v115
	v_pk_add_f16 v35, v102, v35
	v_pk_add_f16 v16, v19, v16
	v_add_f16_e32 v90, v90, v40
	v_mul_f16_e32 v40, 0xbb7b, v99
	v_add_f16_e32 v74, v91, v74
	v_add_f16_e32 v91, v112, v23
	v_pk_fma_f16 v23, 0xbbc42fb7, v17, v98 op_sel:[0,0,1] op_sel_hi:[1,1,0]
	v_fmac_f16_e32 v105, 0x388b, v119
	v_fmac_f16_e32 v28, 0xbbc4, v17
	v_fma_f16 v21, v17, 0x3b15, -v97
	v_fma_f16 v19, v17, 0xb9fd, -v22
	v_pk_add_f16 v35, v106, v35
	v_pk_add_f16 v16, v20, v16
	v_mul_f16_e32 v20, 0x3a95, v115
	v_add_f16_e32 v41, v96, v41
	v_add_f16_e32 v25, v100, v25
	v_mul_f16_e32 v124, 0xbb7b, v115
	v_add_f16_e32 v42, v107, v42
	v_fmamk_f16 v107, v18, 0xb5ac, v40
	v_fma_f16 v125, v18, 0xb5ac, -v40
	v_pk_mul_f16 v32, 0x388b3b15, v32
	v_pk_fma_f16 v40, 0xb9fdb5ac, v119, v84 op_sel:[0,0,1] op_sel_hi:[1,1,0] neg_lo:[0,0,1] neg_hi:[0,0,1]
	v_alignbit_b32 v39, v39, v27, 16
	v_alignbit_b32 v23, v27, v23, 16
	v_add_co_ci_u32_e64 v30, null, 0, 0, s0
	v_pk_add_f16 v30, v0, v1
	v_fmac_f16_e32 v97, 0x3b15, v17
	v_fmac_f16_e32 v22, 0xb9fd, v17
	v_fma_f16 v100, v17, 0x388b, -v20
	v_fmac_f16_e32 v20, 0x388b, v17
	v_add_f16_e32 v26, v113, v26
	v_fma_f16 v113, v17, 0xb5ac, -v124
	v_fmac_f16_e32 v124, 0xb5ac, v17
	v_pk_mul_f16 v108, 0x2fb7b9fd, v108
	v_add_f16_e32 v72, v105, v72
	v_pk_add_f16 v36, v40, v36
	v_pk_add_f16 v39, v39, v35
	v_pk_mul_f16 v35, 0xbbc42fb7, v17
	v_pk_add_f16 v40, v23, v16
	v_add_f16_e32 v111, v28, v41
	v_pk_fma_f16 v16, 0xbbc42fb7, v17, v98 op_sel:[0,0,1] op_sel_hi:[1,1,0] neg_lo:[0,0,1] neg_hi:[0,0,1]
	v_add_f16_e32 v27, v21, v25
	v_add_f16_e32 v28, v19, v42
	v_pack_b32_f16 v17, v33, v121
	v_perm_b32 v19, v15, v34, 0x5040100
	v_pack_b32_f16 v25, v31, v32
	v_perm_b32 v15, v82, v15, 0x7060302
	v_add_f16_e32 v23, v22, v72
	v_bfi_b32 v22, 0xffff, v101, v103
	v_pk_add_f16 v17, v17, v19
	v_pack_b32_f16 v19, v94, v108
	v_pk_add_f16 v15, v25, v15
	v_pk_add_f16 v25, v30, v11
	v_mul_f16_e32 v88, 0x388b, v104
	v_fma_f16 v104, v104, 0x388b, -v89
	v_fma_f16 v109, v119, 0xbbc4, -v116
	v_fmac_f16_e32 v116, 0xbbc4, v119
	v_mul_f16_e32 v92, 0x3770, v99
	v_pk_add_f16 v15, v15, v17
	v_pk_add_f16 v17, v19, v22
	;; [unrolled: 1-line block ×3, first 2 shown]
	v_add_f16_e32 v24, v104, v24
	v_fmamk_f16 v104, v18, 0x3b15, v92
	v_fma_f16 v92, v18, 0x3b15, -v92
	v_pk_mul_f16 v126, 0xb5ac388b, v118
	v_add_f16_e32 v76, v116, v76
	v_pk_add_f16 v19, v19, v7
	v_add_f16_e32 v75, v75, v77
	v_pk_mul_f16 v77, 0xb9fdb5ac, v119
	v_add_f16_e32 v112, v92, v26
	v_add_f16_e32 v26, v20, v76
	v_pack_b32_f16 v20, v89, v126
	v_bfi_b32 v25, 0xffff, v88, v122
	v_pk_add_f16 v19, v19, v8
	v_pk_add_f16 v15, v17, v15
	v_mul_f16_e32 v30, 0x3bf1, v99
	v_mul_f16_e32 v31, 0x2fb7, v18
	v_pk_add_f16 v17, v20, v25
	v_pack_b32_f16 v20, v123, v77
	v_bfi_b32 v25, 0xffff, v86, v84
	v_pk_add_f16 v19, v19, v2
	v_mul_f16_e32 v102, 0xb94e, v99
	v_mul_f16_e32 v96, 0x3a95, v99
	v_pk_add_f16 v15, v17, v15
	v_pk_add_f16 v17, v20, v25
	v_pack_b32_f16 v20, v30, v35
	v_bfi_b32 v31, 0xffff, v31, v98
	v_pk_add_f16 v19, v19, v3
	v_fmac_f16_e32 v95, 0x3b15, v119
	v_fmamk_f16 v106, v18, 0xb9fd, v102
	v_fma_f16 v102, v18, 0xb9fd, -v102
	v_add_f16_e32 v73, v110, v73
	v_fmamk_f16 v110, v18, 0x388b, v96
	v_fma_f16 v96, v18, 0x388b, -v96
	v_add_f16_e32 v80, v114, v80
	v_add_f16_e32 v83, v83, v85
	;; [unrolled: 1-line block ×4, first 2 shown]
	v_pk_add_f16 v15, v17, v15
	v_pk_add_f16 v17, v20, v31
	v_fma_f16 v18, v18, 0x2fb7, -v30
	v_pk_add_f16 v19, v19, v9
	v_pk_add_f16 v41, v16, v36
	v_pk_add_f16 v16, v1, v29 neg_lo:[0,1] neg_hi:[0,1]
	v_add_f16_e32 v81, v95, v81
	v_add_f16_e32 v119, v110, v80
	;; [unrolled: 1-line block ×3, first 2 shown]
	v_pk_add_f16 v113, v17, v15
	v_add_f16_e32 v114, v18, v87
	v_pk_add_f16 v15, v19, v10
	v_mul_lo_u16 v18, v63, 13
	v_lshrrev_b32_e32 v19, 16, v16
	v_pk_add_f16 v80, v11, v14 neg_lo:[0,1] neg_hi:[0,1]
	v_add_f16_e32 v79, v109, v79
	v_add_f16_e32 v25, v124, v81
	v_pk_add_f16 v15, v15, v13
	v_pk_add_f16 v17, v29, v1
	v_and_b32_e32 v1, 0xffff, v18
	v_mul_f16_e32 v18, 0xb770, v19
	v_lshrrev_b32_e32 v81, 16, v80
	v_add_f16_e32 v118, v106, v75
	v_add_f16_e32 v21, v100, v79
	;; [unrolled: 1-line block ×3, first 2 shown]
	v_pk_add_f16 v15, v15, v14
	v_pk_mul_f16 v20, 0x3b15388b, v17
	v_lshl_add_u32 v74, v1, 2, v71
	v_fma_f16 v1, v17, 0x3b15, -v18
	v_fmac_f16_e32 v18, 0x3b15, v17
	v_lshrrev_b32_e32 v30, 16, v17
	v_mul_f16_e32 v31, 0xba95, v16
	v_mul_f16_e32 v42, 0xbbf1, v16
	;; [unrolled: 1-line block ×4, first 2 shown]
	v_pk_add_f16 v11, v14, v11
	v_mul_f16_e32 v82, 0xba95, v81
	v_add_f16_e32 v117, v125, v85
	v_pk_add_f16 v15, v15, v29
	v_pk_fma_f16 v29, 0xba95b770, v16, v20 op_sel:[0,0,1] op_sel_hi:[1,1,0] neg_lo:[0,1,0] neg_hi:[0,1,0]
	v_pk_fma_f16 v20, 0xba95b770, v16, v20 op_sel:[0,0,1] op_sel_hi:[1,1,0]
	v_add_f16_e32 v18, v0, v18
	v_lshrrev_b32_e32 v34, 16, v0
	v_fmamk_f16 v35, v30, 0x388b, v31
	v_fma_f16 v31, v30, 0x388b, -v31
	v_fmamk_f16 v72, v30, 0x2fb7, v42
	v_fma_f16 v42, v30, 0x2fb7, -v42
	;; [unrolled: 2-line block ×4, first 2 shown]
	v_pk_mul_f16 v79, 0x388bb5ac, v11
	v_fma_f16 v84, v11, 0x388b, -v82
	v_fmac_f16_e32 v82, 0x388b, v11
	v_lshrrev_b32_e32 v85, 16, v11
	v_mul_f16_e32 v86, 0xbb7b, v80
	v_add_f16_e32 v120, v104, v73
	v_add_f16_e32 v116, v107, v83
	;; [unrolled: 1-line block ×3, first 2 shown]
	v_bfi_b32 v32, 0xffff, v20, v29
	v_mul_f16_e32 v33, 0xbbf1, v19
	v_add_f16_e32 v35, v34, v35
	v_pk_add_f16 v20, v0, v20 op_sel:[1,0] op_sel_hi:[0,1]
	v_mul_f16_e32 v73, 0xbb7b, v19
	v_pk_fma_f16 v83, 0xbb7bba95, v80, v79 op_sel:[0,0,1] op_sel_hi:[1,1,0] neg_lo:[0,1,0] neg_hi:[0,1,0]
	v_pk_fma_f16 v79, 0xbb7bba95, v80, v79 op_sel:[0,0,1] op_sel_hi:[1,1,0]
	v_add_f16_e32 v18, v82, v18
	v_fmamk_f16 v82, v85, 0xb5ac, v86
	v_mul_f16_e32 v88, 0xb3a8, v80
	v_pk_add_f16 v32, v0, v32 op_sel:[1,0] op_sel_hi:[0,1]
	v_fma_f16 v36, v17, 0x2fb7, -v33
	v_add_f16_e32 v31, v34, v31
	v_fmac_f16_e32 v33, 0x2fb7, v17
	v_add_f16_e32 v72, v34, v72
	v_fma_f16 v76, v17, 0xb5ac, -v73
	v_fmac_f16_e32 v73, 0xb5ac, v17
	v_bfi_b32 v87, 0xffff, v79, v83
	v_add_f16_e32 v1, v84, v1
	v_mul_f16_e32 v84, 0xb3a8, v81
	v_fma_f16 v86, v85, 0xb5ac, -v86
	v_add_f16_e32 v35, v82, v35
	v_pk_add_f16 v20, v79, v20
	v_fmamk_f16 v79, v85, 0xbbc4, v88
	v_mul_f16_e32 v82, 0x394e, v81
	v_add_f16_e32 v33, v0, v33
	v_mul_f16_e32 v19, 0xb94e, v19
	v_add_f16_e32 v76, v0, v76
	v_add_f16_e32 v73, v0, v73
	v_pk_add_f16 v32, v87, v32
	v_fma_f16 v87, v11, 0xbbc4, -v84
	v_add_f16_e32 v31, v86, v31
	v_fmac_f16_e32 v84, 0xbbc4, v11
	v_mul_f16_e32 v86, 0x394e, v80
	v_add_f16_e32 v72, v79, v72
	v_fma_f16 v79, v11, 0xb9fd, -v82
	v_fmac_f16_e32 v82, 0xb9fd, v11
	v_add_f16_e32 v115, v102, v78
	v_add_f16_e32 v77, v34, v77
	v_fma_f16 v78, v17, 0xb9fd, -v19
	v_add_f16_e32 v75, v34, v75
	v_add_f16_e32 v33, v84, v33
	v_fmamk_f16 v84, v85, 0xb9fd, v86
	v_mul_f16_e32 v81, 0x3bf1, v81
	v_add_f16_e32 v76, v79, v76
	v_fma_f16 v79, v85, 0xb9fd, -v86
	v_add_f16_e32 v73, v82, v73
	v_mul_f16_e32 v82, 0x3bf1, v80
	v_pk_add_f16 v86, v12, v13 neg_lo:[0,1] neg_hi:[0,1]
	v_add_f16_e32 v78, v0, v78
	v_fmac_f16_e32 v19, 0xb9fd, v17
	v_add_f16_e32 v14, v34, v14
	v_add_f16_e32 v77, v84, v77
	v_fma_f16 v84, v11, 0x2fb7, -v81
	v_add_f16_e32 v75, v79, v75
	v_pk_add_f16 v12, v13, v12
	v_fmamk_f16 v13, v85, 0x2fb7, v82
	v_lshrrev_b32_e32 v79, 16, v86
	v_add_f16_e32 v36, v0, v36
	v_add_f16_e32 v19, v0, v19
	v_add_f16_e32 v30, v34, v30
	v_add_f16_e32 v78, v84, v78
	v_fmac_f16_e32 v81, 0x2fb7, v11
	v_fma_f16 v82, v85, 0x2fb7, -v82
	v_pk_mul_f16 v84, 0x2fb7bbc4, v12
	v_add_f16_e32 v13, v13, v14
	v_mul_f16_e32 v14, 0xbbf1, v79
	v_add_f16_e32 v42, v34, v42
	v_add_f16_e32 v36, v87, v36
	v_fma_f16 v87, v85, 0xbbc4, -v88
	v_add_f16_e32 v19, v81, v19
	v_add_f16_e32 v30, v82, v30
	v_pk_fma_f16 v81, 0xb3a8bbf1, v86, v84 op_sel:[0,0,1] op_sel_hi:[1,1,0] neg_lo:[0,1,0] neg_hi:[0,1,0]
	v_pk_fma_f16 v82, 0xb3a8bbf1, v86, v84 op_sel:[0,0,1] op_sel_hi:[1,1,0]
	v_fma_f16 v84, v12, 0x2fb7, -v14
	v_add_f16_e32 v42, v87, v42
	v_fmac_f16_e32 v14, 0x2fb7, v12
	v_lshrrev_b32_e32 v85, 16, v12
	v_mul_f16_e32 v87, 0xb3a8, v86
	v_bfi_b32 v88, 0xffff, v82, v81
	v_add_f16_e32 v1, v84, v1
	v_mul_f16_e32 v84, 0x3b7b, v79
	v_add_f16_e32 v14, v14, v18
	v_fmamk_f16 v18, v85, 0xbbc4, v87
	v_pk_add_f16 v32, v88, v32
	v_fma_f16 v87, v85, 0xbbc4, -v87
	v_fma_f16 v88, v12, 0xb5ac, -v84
	v_mul_f16_e32 v89, 0x3b7b, v86
	v_add_f16_e32 v18, v18, v35
	v_pk_add_f16 v20, v82, v20
	v_add_f16_e32 v31, v87, v31
	v_add_f16_e32 v35, v88, v36
	v_fmamk_f16 v36, v85, 0xb5ac, v89
	v_fmac_f16_e32 v84, 0xb5ac, v12
	v_mul_f16_e32 v82, 0x3770, v79
	v_mul_f16_e32 v87, 0x3770, v86
	;; [unrolled: 1-line block ×3, first 2 shown]
	v_add_f16_e32 v36, v36, v72
	v_add_f16_e32 v33, v84, v33
	v_fma_f16 v72, v12, 0x3b15, -v82
	v_fmamk_f16 v84, v85, 0x3b15, v87
	v_fmac_f16_e32 v82, 0x3b15, v12
	v_fma_f16 v88, v85, 0xb5ac, -v89
	v_add_f16_e32 v24, v97, v90
	v_add_f16_e32 v72, v72, v76
	;; [unrolled: 1-line block ×3, first 2 shown]
	v_fma_f16 v77, v85, 0x3b15, -v87
	v_fma_f16 v84, v12, 0x388b, -v79
	v_add_f16_e32 v73, v82, v73
	v_mul_f16_e32 v82, 0xba95, v86
	v_pk_add_f16 v87, v7, v10 neg_lo:[0,1] neg_hi:[0,1]
	v_add_f16_e32 v75, v77, v75
	v_add_f16_e32 v77, v84, v78
	v_pk_add_f16 v7, v10, v7
	v_fmamk_f16 v10, v85, 0x388b, v82
	v_lshrrev_b32_e32 v78, 16, v87
	v_fmac_f16_e32 v79, 0x388b, v12
	v_fma_f16 v82, v85, 0x388b, -v82
	v_pk_mul_f16 v84, 0xb5acb9fd, v7
	v_add_f16_e32 v10, v10, v13
	v_mul_f16_e32 v13, 0xbb7b, v78
	v_add_f16_e32 v19, v79, v19
	v_add_f16_e32 v30, v82, v30
	v_pk_fma_f16 v79, 0x394ebb7b, v87, v84 op_sel:[0,0,1] op_sel_hi:[1,1,0] neg_lo:[0,1,0] neg_hi:[0,1,0]
	v_pk_fma_f16 v82, 0x394ebb7b, v87, v84 op_sel:[0,0,1] op_sel_hi:[1,1,0]
	v_fma_f16 v84, v7, 0xb5ac, -v13
	v_add_f16_e32 v42, v88, v42
	v_lshrrev_b32_e32 v85, 16, v7
	v_mul_f16_e32 v88, 0x394e, v87
	v_fmac_f16_e32 v13, 0xb5ac, v7
	v_bfi_b32 v89, 0xffff, v82, v79
	v_add_f16_e32 v1, v84, v1
	v_mul_f16_e32 v84, 0x3770, v78
	v_fmamk_f16 v90, v85, 0xb9fd, v88
	v_add_f16_e32 v13, v13, v14
	v_pk_add_f16 v14, v89, v32
	v_fma_f16 v32, v85, 0xb9fd, -v88
	v_fma_f16 v88, v7, 0x3b15, -v84
	v_pk_add_f16 v20, v82, v20
	v_mul_f16_e32 v82, 0x3770, v87
	v_fmac_f16_e32 v84, 0x3b15, v7
	v_add_f16_e32 v31, v32, v31
	v_add_f16_e32 v32, v88, v35
	v_mul_f16_e32 v35, 0xbbf1, v78
	v_mul_f16_e32 v88, 0xbbf1, v87
	v_fmamk_f16 v89, v85, 0x3b15, v82
	v_fma_f16 v82, v85, 0x3b15, -v82
	v_add_f16_e32 v18, v90, v18
	v_fma_f16 v90, v7, 0x2fb7, -v35
	v_add_f16_e32 v33, v84, v33
	v_fmac_f16_e32 v35, 0x2fb7, v7
	v_add_f16_e32 v42, v82, v42
	v_fma_f16 v82, v85, 0x2fb7, -v88
	v_mul_f16_e32 v78, 0x33a8, v78
	v_pk_add_f16 v84, v8, v9 neg_lo:[0,1] neg_hi:[0,1]
	v_fmamk_f16 v91, v85, 0x2fb7, v88
	v_mul_f16_e32 v88, 0x33a8, v87
	v_add_f16_e32 v35, v35, v73
	v_add_f16_e32 v73, v82, v75
	v_fma_f16 v75, v7, 0xbbc4, -v78
	v_lshrrev_b32_e32 v82, 16, v84
	v_pk_add_f16 v8, v9, v8
	v_add_f16_e32 v36, v89, v36
	v_fmamk_f16 v89, v85, 0xbbc4, v88
	v_fmac_f16_e32 v78, 0xbbc4, v7
	v_add_f16_e32 v9, v75, v77
	v_mul_f16_e32 v75, 0xb94e, v82
	v_pk_mul_f16 v77, 0xb9fd2fb7, v8
	v_add_f16_e32 v72, v90, v72
	v_add_f16_e32 v10, v89, v10
	;; [unrolled: 1-line block ×3, first 2 shown]
	v_fma_f16 v78, v85, 0xbbc4, -v88
	v_fma_f16 v85, v8, 0xb9fd, -v75
	v_fmac_f16_e32 v75, 0xb9fd, v8
	v_pk_fma_f16 v88, 0x3bf1b94e, v84, v77 op_sel:[0,0,1] op_sel_hi:[1,1,0] neg_lo:[0,1,0] neg_hi:[0,1,0]
	v_pk_fma_f16 v77, 0x3bf1b94e, v84, v77 op_sel:[0,0,1] op_sel_hi:[1,1,0]
	v_lshrrev_b32_e32 v89, 16, v8
	v_mul_f16_e32 v90, 0x3bf1, v84
	v_add_f16_e32 v30, v78, v30
	v_add_f16_e32 v1, v85, v1
	;; [unrolled: 1-line block ×3, first 2 shown]
	v_bfi_b32 v75, 0xffff, v77, v88
	v_fmamk_f16 v78, v89, 0x2fb7, v90
	v_fma_f16 v85, v89, 0x2fb7, -v90
	v_mul_f16_e32 v90, 0xba95, v82
	v_add_f16_e32 v76, v91, v76
	v_mul_f16_e32 v91, 0xba95, v84
	v_pk_add_f16 v14, v75, v14
	v_add_f16_e32 v31, v85, v31
	v_fma_f16 v75, v8, 0x388b, -v90
	v_mul_f16_e32 v85, 0x33a8, v82
	v_add_f16_e32 v18, v78, v18
	v_fmamk_f16 v78, v89, 0x388b, v91
	v_mul_f16_e32 v92, 0x33a8, v84
	v_add_f16_e32 v32, v75, v32
	v_fma_f16 v75, v8, 0xbbc4, -v85
	v_fmac_f16_e32 v85, 0xbbc4, v8
	v_fmac_f16_e32 v90, 0x388b, v8
	v_add_f16_e32 v36, v78, v36
	v_fmamk_f16 v78, v89, 0xbbc4, v92
	v_mul_f16_e32 v82, 0x3770, v82
	v_add_f16_e32 v35, v85, v35
	v_pk_add_f16 v85, v2, v3 neg_lo:[0,1] neg_hi:[0,1]
	v_add_f16_e32 v33, v90, v33
	v_fma_f16 v90, v89, 0x388b, -v91
	v_add_f16_e32 v72, v75, v72
	v_add_f16_e32 v75, v78, v76
	v_fma_f16 v76, v89, 0xbbc4, -v92
	v_mul_f16_e32 v91, 0x3770, v84
	v_add_f16_e32 v29, v34, v29
	v_lshrrev_b32_e32 v34, 16, v85
	v_fma_f16 v78, v8, 0x3b15, -v82
	v_add_f16_e32 v73, v76, v73
	v_fmamk_f16 v76, v89, 0x3b15, v91
	v_pk_add_f16 v2, v3, v2
	v_add_f16_e32 v3, v83, v29
	v_mul_f16_e32 v29, 0xb3a8, v34
	v_add_f16_e32 v9, v78, v9
	v_add_f16_e32 v10, v76, v10
	v_fma_f16 v76, v89, 0x3b15, -v91
	v_add_f16_e32 v3, v81, v3
	v_fma_f16 v78, v2, 0xbbc4, -v29
	v_fmac_f16_e32 v29, 0xbbc4, v2
	v_pk_mul_f16 v81, 0xbbc43b15, v2
	v_add_f16_e32 v30, v76, v30
	v_add_f16_e32 v3, v79, v3
	;; [unrolled: 1-line block ×4, first 2 shown]
	v_pk_fma_f16 v13, 0x3770b3a8, v85, v81 op_sel:[0,0,1] op_sel_hi:[1,1,0] neg_lo:[0,1,0] neg_hi:[0,1,0]
	v_pk_fma_f16 v29, 0x3770b3a8, v85, v81 op_sel:[0,0,1] op_sel_hi:[1,1,0]
	v_add_f16_e32 v3, v88, v3
	v_lshrrev_b32_e32 v78, 16, v2
	v_mul_f16_e32 v79, 0x3770, v85
	v_mul_f16_e32 v83, 0xb94e, v34
	v_bfi_b32 v29, 0xffff, v29, v13
	v_add_f16_e32 v3, v13, v3
	v_mul_f16_e32 v88, 0xb9fd, v78
	v_fmamk_f16 v13, v78, 0x3b15, v79
	v_fma_f16 v79, v78, 0x3b15, -v79
	v_pk_add_f16 v14, v29, v14
	v_fma_f16 v29, v2, 0xb9fd, -v83
	v_pk_mul_f16 v17, 0xbbc4, v17 op_sel_hi:[0,1]
	v_add_f16_e32 v13, v13, v18
	v_add_f16_e32 v18, v79, v31
	v_mul_f16_e32 v31, 0x3a95, v34
	v_add_f16_e32 v29, v29, v32
	v_fmamk_f16 v32, v85, 0xb94e, v88
	v_mul_f16_e32 v79, 0x3a95, v85
	v_mul_f16_e32 v34, 0xbb7b, v34
	v_fma_f16 v89, v2, 0x388b, -v31
	v_fmac_f16_e32 v31, 0x388b, v2
	v_add_f16_e32 v32, v32, v36
	v_fmamk_f16 v36, v78, 0x388b, v79
	v_fma_f16 v79, v78, 0x388b, -v79
	v_pk_mul_f16 v11, 0x3b15, v11 op_sel_hi:[0,1]
	v_add_f16_e32 v31, v31, v35
	v_pk_mul_f16 v12, 0xb9fd, v12 op_sel_hi:[0,1]
	v_pk_mul_f16 v7, 0x388b, v7 op_sel_hi:[0,1]
	v_add_f16_e32 v35, v79, v73
	v_fma_f16 v73, v2, 0xb5ac, -v34
	v_pk_fma_f16 v79, 0xb3a8, v16, v17 op_sel:[0,0,1] op_sel_hi:[0,1,0] neg_lo:[0,1,0] neg_hi:[0,1,0]
	v_pk_fma_f16 v16, 0xb3a8, v16, v17 op_sel:[0,0,1] op_sel_hi:[0,1,0]
	v_fmac_f16_e32 v82, 0x3b15, v8
	v_add_f16_e32 v36, v36, v75
	v_add_f16_e32 v9, v73, v9
	v_pk_add_f16 v73, v0, v79 op_sel:[1,0] op_sel_hi:[0,1]
	v_pk_add_f16 v0, v0, v16 op_sel:[1,0] op_sel_hi:[0,1]
	v_pk_fma_f16 v16, 0x3770, v80, v11 op_sel:[0,0,1] op_sel_hi:[0,1,0] neg_lo:[0,1,0] neg_hi:[0,1,0]
	v_pk_fma_f16 v11, 0x3770, v80, v11 op_sel:[0,0,1] op_sel_hi:[0,1,0]
	v_mul_f16_e32 v75, 0xbb7b, v85
	v_pk_mul_f16 v8, 0xb5ac, v8 op_sel_hi:[0,1]
	v_add_f16_e32 v19, v82, v19
	v_pk_add_f16 v16, v16, v73
	v_pk_add_f16 v0, v11, v0
	v_pk_fma_f16 v11, 0xb94e, v86, v12 op_sel:[0,0,1] op_sel_hi:[0,1,0] neg_lo:[0,1,0] neg_hi:[0,1,0]
	v_pk_fma_f16 v12, 0xb94e, v86, v12 op_sel:[0,0,1] op_sel_hi:[0,1,0]
	v_mul_f16_e32 v91, 0xb94e, v85
	v_fmamk_f16 v17, v78, 0xb5ac, v75
	v_fmac_f16_e32 v34, 0xb5ac, v2
	v_pk_add_f16 v11, v11, v16
	v_pk_add_f16 v0, v12, v0
	v_pk_fma_f16 v12, 0x3a95, v87, v7 op_sel:[0,0,1] op_sel_hi:[0,1,0] neg_lo:[0,1,0] neg_hi:[0,1,0]
	v_pk_fma_f16 v7, 0x3a95, v87, v7 op_sel:[0,0,1] op_sel_hi:[0,1,0]
	v_pk_mul_f16 v82, 0x3770b3a8, v85
	v_fmac_f16_e32 v83, 0xb9fd, v2
	v_add_f16_e32 v10, v17, v10
	v_pk_add_f16 v11, v12, v11
	v_pk_fma_f16 v12, 0xbb7b, v84, v8 op_sel:[0,0,1] op_sel_hi:[0,1,0] neg_lo:[0,1,0] neg_hi:[0,1,0]
	v_add_f16_e32 v17, v34, v19
	v_fma_f16 v19, v78, 0xb5ac, -v75
	v_pk_add_f16 v0, v7, v0
	v_pk_fma_f16 v7, 0xbb7b, v84, v8 op_sel:[0,0,1] op_sel_hi:[0,1,0]
	v_pk_mul_f16 v2, 0x2fb7, v2 op_sel_hi:[0,1]
	v_pk_add_f16 v11, v12, v11
	v_bfi_b32 v12, 0xffff, v91, v20
	v_add_f16_e32 v16, v19, v30
	v_alignbit_b32 v13, v13, v14, 16
	v_pack_b32_f16 v8, v76, v14
	v_pk_add_f16 v0, v7, v0
	v_pk_fma_f16 v7, 0x3bf1, v85, v2 op_sel:[0,0,1] op_sel_hi:[0,1,0] neg_lo:[0,1,0] neg_hi:[0,1,0]
	v_pack_b32_f16 v14, v90, v81
	v_bfi_b32 v19, 0xffff, v42, v82
	v_pk_add_f16 v12, v88, v12 neg_lo:[0,1] neg_hi:[0,1]
	v_pk_add_f16 v20, v77, v20
	v_pk_fma_f16 v2, 0x3bf1, v85, v2 op_sel:[0,0,1] op_sel_hi:[0,1,0]
	v_pack_b32_f16 v9, v9, v10
	v_pk_add_f16 v7, v7, v11
	v_pk_add_f16 v10, v14, v19
	v_bfi_b32 v11, 0xffff, v12, v20
	v_add_f16_e32 v72, v89, v72
	v_pk_add_f16 v0, v2, v0
	global_wb scope:SCOPE_SE
	s_wait_kmcnt 0x0
	s_barrier_signal -1
	s_barrier_wait -1
	global_inv scope:SCOPE_SE
	v_add_f16_e32 v33, v83, v33
	ds_store_2addr_b32 v74, v15, v9 offset1:5
	v_pk_add_f16 v9, v11, v10
	v_mul_u32_u24_e32 v75, 13, v38
	v_pack_b32_f16 v2, v72, v36
	v_pack_b32_f16 v12, v29, v32
	v_alignbit_b32 v10, v7, v0, 16
	v_alignbit_b32 v0, v0, v7, 16
	v_pack_b32_f16 v7, v31, v35
	v_pack_b32_f16 v11, v17, v16
	v_alignbit_b32 v14, v18, v9, 16
	v_pack_b32_f16 v9, v33, v9
	v_pack_b32_f16 v15, v1, v3
	ds_store_2addr_b32 v74, v8, v13 offset0:1 offset1:2
	ds_store_2addr_b32 v74, v12, v2 offset0:3 offset1:4
	;; [unrolled: 1-line block ×5, first 2 shown]
	ds_store_b32 v74, v15 offset:48
	s_and_saveexec_b32 s0, vcc_lo
	s_cbranch_execz .LBB0_7
; %bb.6:
	v_lshl_add_u32 v0, v75, 2, v71
	v_alignbit_b32 v2, v40, v39, 16
	v_alignbit_b32 v7, v39, v40, 16
	v_perm_b32 v8, v118, v28, 0x5040100
	v_perm_b32 v9, v120, v27, 0x5040100
	v_perm_b32 v10, v116, v22, 0x5040100
	v_perm_b32 v11, v119, v21, 0x5040100
	v_perm_b32 v12, v113, v41, 0x5040100
	v_alignbit_b32 v13, v114, v113, 16
	v_perm_b32 v14, v121, v26, 0x5040100
	v_perm_b32 v15, v117, v25, 0x5040100
	;; [unrolled: 1-line block ×4, first 2 shown]
	v_bfi_b32 v18, 0xffff, v111, v41
	ds_store_2addr_b32 v0, v7, v2 offset1:1
	ds_store_2addr_b32 v0, v9, v8 offset0:2 offset1:3
	ds_store_2addr_b32 v0, v11, v10 offset0:4 offset1:5
	;; [unrolled: 1-line block ×5, first 2 shown]
	ds_store_b32 v0, v18 offset:48
.LBB0_7:
	s_wait_alu 0xfffe
	s_or_b32 exec_lo, exec_lo, s0
	v_add_nc_u32_e32 v0, 0x400, v43
	global_wb scope:SCOPE_SE
	s_wait_dscnt 0x0
	s_barrier_signal -1
	s_barrier_wait -1
	global_inv scope:SCOPE_SE
	ds_load_2addr_b32 v[29:30], v43 offset1:39
	ds_load_2addr_b32 v[35:36], v43 offset0:182 offset1:221
	ds_load_2addr_b32 v[33:34], v0 offset0:108 offset1:147
	;; [unrolled: 1-line block ×5, first 2 shown]
	v_cmp_gt_u16_e64 s0, 26, v63
	v_lshrrev_b32_e32 v0, 16, v39
	s_delay_alu instid0(VALU_DEP_2)
	s_and_saveexec_b32 s1, s0
	s_cbranch_execz .LBB0_9
; %bb.8:
	v_add_nc_u32_e32 v0, 0x200, v43
	ds_load_2addr_b32 v[1:2], v0 offset0:28 offset1:210
	ds_load_b32 v0, v43 offset:2080
	s_wait_dscnt 0x1
	v_lshrrev_b32_e32 v3, 16, v1
	v_lshrrev_b32_e32 v39, 16, v2
	s_wait_dscnt 0x0
	v_alignbit_b32 v40, v2, v0, 16
.LBB0_9:
	s_wait_alu 0xfffe
	s_or_b32 exec_lo, exec_lo, s1
	v_and_b32_e32 v7, 0xff, v38
	v_and_b32_e32 v2, 0xff, v63
	v_add_nc_u16 v8, v63, 0x4e
	v_add_nc_u16 v9, v63, 0x75
	;; [unrolled: 1-line block ×3, first 2 shown]
	v_mul_lo_u16 v7, 0x4f, v7
	v_mul_lo_u16 v2, 0x4f, v2
	v_and_b32_e32 v11, 0xff, v8
	s_wait_dscnt 0x4
	v_lshrrev_b32_e32 v92, 16, v35
	v_and_b32_e32 v13, 0xff, v10
	v_lshrrev_b16 v42, 10, v7
	v_and_b32_e32 v7, 0xff, v9
	v_lshrrev_b16 v2, 10, v2
	v_mul_lo_u16 v11, 0x4f, v11
	v_mul_lo_u16 v13, 0x4f, v13
	v_mul_lo_u16 v14, v42, 13
	v_mul_lo_u16 v7, 0x4f, v7
	v_mul_lo_u16 v12, v2, 13
	v_lshrrev_b16 v72, 10, v11
	v_lshrrev_b16 v77, 10, v13
	v_sub_nc_u16 v11, v38, v14
	v_lshrrev_b16 v38, 10, v7
	v_sub_nc_u16 v12, v63, v12
	v_mul_lo_u16 v7, v72, 13
	v_mul_lo_u16 v13, v77, 13
	v_and_b32_e32 v78, 0xff, v11
	v_mul_lo_u16 v11, v38, 13
	v_and_b32_e32 v76, 0xff, v12
	v_sub_nc_u16 v7, v8, v7
	v_sub_nc_u16 v10, v10, v13
	v_lshlrev_b32_e32 v8, 3, v78
	v_sub_nc_u16 v9, v9, v11
	v_lshlrev_b32_e32 v12, 3, v76
	v_and_b32_e32 v79, 0xff, v7
	v_and_b32_e32 v73, 0xff, v10
	global_load_b64 v[13:14], v8, s[2:3]
	v_and_b32_e32 v80, 0xff, v9
	global_load_b64 v[15:16], v12, s[2:3]
	v_lshlrev_b32_e32 v7, 3, v79
	v_lshlrev_b32_e32 v81, 3, v73
	v_and_b32_e32 v2, 0xffff, v2
	v_lshlrev_b32_e32 v8, 3, v80
	v_and_b32_e32 v42, 0xffff, v42
	v_and_b32_e32 v72, 0xffff, v72
	s_clause 0x2
	global_load_b64 v[11:12], v7, s[2:3]
	global_load_b64 v[9:10], v8, s[2:3]
	;; [unrolled: 1-line block ×3, first 2 shown]
	v_mul_u32_u24_e32 v2, 39, v2
	v_and_b32_e32 v38, 0xffff, v38
	v_mul_u32_u24_e32 v42, 39, v42
	v_mul_u32_u24_e32 v72, 39, v72
	s_wait_dscnt 0x3
	v_lshrrev_b32_e32 v93, 16, v33
	v_add_nc_u32_e32 v2, v2, v76
	v_mul_u32_u24_e32 v38, 39, v38
	v_lshrrev_b32_e32 v95, 16, v36
	v_lshrrev_b32_e32 v96, 16, v34
	v_add_nc_u32_e32 v42, v42, v78
	v_lshl_add_u32 v82, v2, 2, v71
	v_add_nc_u32_e32 v2, v72, v79
	v_add_nc_u32_e32 v38, v38, v80
	s_wait_dscnt 0x1
	v_lshrrev_b32_e32 v98, 16, v31
	s_wait_dscnt 0x0
	v_lshrrev_b32_e32 v99, 16, v19
	v_lshrrev_b32_e32 v101, 16, v32
	;; [unrolled: 1-line block ×3, first 2 shown]
	v_and_b32_e32 v76, 0xffff, v77
	v_lshl_add_u32 v77, v42, 2, v71
	v_lshl_add_u32 v78, v2, 2, v71
	;; [unrolled: 1-line block ×3, first 2 shown]
	v_lshrrev_b32_e32 v102, 16, v20
	v_lshrrev_b32_e32 v91, 16, v29
	;; [unrolled: 1-line block ×5, first 2 shown]
	global_wb scope:SCOPE_SE
	s_wait_loadcnt 0x0
	s_barrier_signal -1
	s_barrier_wait -1
	global_inv scope:SCOPE_SE
	v_lshrrev_b32_e32 v88, 16, v13
	v_lshrrev_b32_e32 v86, 16, v14
	;; [unrolled: 1-line block ×4, first 2 shown]
	s_delay_alu instid0(VALU_DEP_4) | instskip(SKIP_1) | instid1(VALU_DEP_4)
	v_mul_f16_e32 v104, v95, v88
	v_mul_f16_e32 v105, v36, v88
	v_mul_f16_e32 v2, v92, v90
	v_mul_f16_e32 v38, v35, v90
	v_mul_f16_e32 v42, v93, v89
	v_mul_f16_e32 v72, v33, v89
	v_mul_f16_e32 v106, v96, v86
	v_mul_f16_e32 v107, v34, v86
	v_lshrrev_b32_e32 v87, 16, v11
	v_lshrrev_b32_e32 v85, 16, v12
	;; [unrolled: 1-line block ×6, first 2 shown]
	v_fma_f16 v35, v35, v15, -v2
	v_fmac_f16_e32 v38, v92, v15
	v_fma_f16 v42, v33, v16, -v42
	v_fmac_f16_e32 v72, v93, v16
	;; [unrolled: 2-line block ×4, first 2 shown]
	v_mul_f16_e32 v92, v98, v87
	v_mul_f16_e32 v93, v31, v87
	;; [unrolled: 1-line block ×12, first 2 shown]
	v_fma_f16 v31, v31, v11, -v92
	v_fmac_f16_e32 v93, v98, v11
	v_fma_f16 v92, v19, v12, -v95
	v_fmac_f16_e32 v96, v99, v12
	;; [unrolled: 2-line block ×3, first 2 shown]
	v_fmac_f16_e32 v33, v39, v7
	v_fmac_f16_e32 v2, v40, v8
	v_add_f16_e32 v39, v29, v35
	v_add_f16_e32 v40, v35, v42
	v_sub_f16_e32 v95, v38, v72
	v_add_f16_e32 v98, v91, v38
	v_add_f16_e32 v38, v38, v72
	;; [unrolled: 1-line block ×5, first 2 shown]
	v_fma_f16 v20, v20, v10, -v108
	v_fmac_f16_e32 v109, v102, v10
	v_fma_f16 v19, v103, v7, -v110
	v_add_f16_e32 v103, v94, v105
	v_fma_f16 v0, v0, v8, -v122
	v_sub_f16_e32 v35, v35, v42
	v_sub_f16_e32 v102, v105, v107
	;; [unrolled: 1-line block ×3, first 2 shown]
	v_add_f16_e32 v39, v39, v42
	v_fma_f16 v40, -0.5, v40, v29
	v_add_f16_e32 v42, v98, v72
	v_fmac_f16_e32 v91, -0.5, v38
	v_add_f16_e32 v34, v99, v34
	v_fmac_f16_e32 v30, -0.5, v101
	v_fmac_f16_e32 v94, -0.5, v104
	v_add_f16_e32 v72, v17, v31
	v_add_f16_e32 v98, v31, v92
	v_sub_f16_e32 v99, v93, v96
	v_add_f16_e32 v101, v97, v93
	v_add_f16_e32 v93, v93, v96
	;; [unrolled: 1-line block ×4, first 2 shown]
	v_sub_f16_e32 v107, v106, v109
	v_add_f16_e32 v108, v100, v106
	v_add_f16_e32 v106, v106, v109
	;; [unrolled: 1-line block ×3, first 2 shown]
	v_sub_f16_e32 v110, v32, v20
	v_add_f16_e32 v32, v19, v0
	v_add_f16_e32 v122, v33, v2
	v_sub_f16_e32 v103, v31, v92
	v_fmamk_f16 v124, v95, 0x3aee, v40
	v_fmac_f16_e32 v40, 0xbaee, v95
	v_fmamk_f16 v95, v35, 0xbaee, v91
	v_fmac_f16_e32 v91, 0x3aee, v35
	;; [unrolled: 2-line block ×4, first 2 shown]
	v_add_f16_e32 v36, v72, v92
	v_fma_f16 v72, -0.5, v98, v17
	v_fmac_f16_e32 v97, -0.5, v93
	v_fmac_f16_e32 v18, -0.5, v105
	;; [unrolled: 1-line block ×3, first 2 shown]
	v_sub_f16_e32 v29, v33, v2
	v_sub_f16_e32 v31, v19, v0
	v_fma_f16 v17, -0.5, v32, v1
	v_fma_f16 v32, -0.5, v122, v3
	v_add_f16_e32 v92, v101, v96
	v_pack_b32_f16 v39, v39, v42
	v_pack_b32_f16 v34, v34, v38
	v_fmamk_f16 v38, v99, 0x3aee, v72
	v_fmamk_f16 v42, v103, 0xbaee, v97
	v_pack_b32_f16 v95, v124, v95
	v_fmac_f16_e32 v72, 0xbaee, v99
	v_fmac_f16_e32 v97, 0x3aee, v103
	v_pack_b32_f16 v40, v40, v91
	v_add_f16_e32 v93, v104, v20
	v_add_f16_e32 v96, v108, v109
	v_fmamk_f16 v98, v107, 0x3aee, v18
	v_fmamk_f16 v99, v110, 0xbaee, v100
	v_pack_b32_f16 v35, v35, v102
	v_fmac_f16_e32 v18, 0xbaee, v107
	v_fmac_f16_e32 v100, 0x3aee, v110
	v_fmamk_f16 v20, v29, 0xbaee, v17
	v_fmamk_f16 v123, v31, 0x3aee, v32
	v_pack_b32_f16 v30, v30, v94
	v_pack_b32_f16 v36, v36, v92
	ds_store_2addr_b32 v82, v39, v95 offset1:13
	ds_store_b32 v82, v40 offset:104
	ds_store_2addr_b32 v77, v34, v35 offset1:13
	v_pack_b32_f16 v34, v38, v42
	v_pack_b32_f16 v35, v72, v97
	v_pack_b32_f16 v91, v93, v96
	v_pack_b32_f16 v38, v98, v99
	v_pack_b32_f16 v18, v18, v100
	ds_store_b32 v77, v30 offset:104
	ds_store_2addr_b32 v78, v36, v34 offset1:13
	ds_store_b32 v78, v35 offset:104
	ds_store_2addr_b32 v79, v91, v38 offset1:13
	ds_store_b32 v79, v18 offset:104
	s_and_saveexec_b32 s1, s0
	s_cbranch_execz .LBB0_11
; %bb.10:
	v_mul_f16_e32 v18, 0x3aee, v31
	v_add_f16_e32 v3, v3, v33
	v_mul_u32_u24_e32 v30, 39, v76
	v_add_f16_e32 v1, v1, v19
	v_mul_f16_e32 v19, 0x3aee, v29
	v_sub_f16_e32 v18, v32, v18
	v_add_f16_e32 v2, v3, v2
	v_add_nc_u32_e32 v3, v30, v73
	v_add_f16_e32 v0, v1, v0
	v_add_f16_e32 v1, v19, v17
	s_delay_alu instid0(VALU_DEP_3) | instskip(NEXT) | instid1(VALU_DEP_3)
	v_lshl_add_u32 v3, v3, 2, v71
	v_pack_b32_f16 v0, v0, v2
	s_delay_alu instid0(VALU_DEP_3)
	v_pack_b32_f16 v1, v1, v18
	v_perm_b32 v2, v123, v20, 0x5040100
	ds_store_2addr_b32 v3, v0, v1 offset1:13
	ds_store_b32 v3, v2 offset:104
.LBB0_11:
	s_wait_alu 0xfffe
	s_or_b32 exec_lo, exec_lo, s1
	v_mad_co_u64_u32 v[29:30], null, v63, 24, s[2:3]
	global_wb scope:SCOPE_SE
	s_wait_dscnt 0x0
	s_barrier_signal -1
	s_barrier_wait -1
	global_inv scope:SCOPE_SE
	v_add_nc_u32_e32 v31, 0x200, v43
	v_add_nc_u32_e32 v39, 0x400, v43
	s_clause 0x1
	global_load_b128 v[0:3], v[29:30], off offset:104
	global_load_b64 v[17:18], v[29:30], off offset:120
	ds_load_2addr_b32 v[32:33], v43 offset1:39
	ds_load_2addr_b32 v[34:35], v43 offset0:78 offset1:117
	ds_load_2addr_b32 v[91:92], v43 offset0:156 offset1:195
	;; [unrolled: 1-line block ×6, first 2 shown]
	v_mul_i32_i24_e32 v36, 0xffffffec, v63
	v_mul_hi_i32_i24_e32 v19, 0xffffffec, v63
	global_wb scope:SCOPE_SE
	s_wait_loadcnt_dscnt 0x0
	s_barrier_signal -1
	s_barrier_wait -1
	v_add_co_u32 v29, s1, v29, v36
	s_wait_alu 0xf1ff
	v_add_co_ci_u32_e64 v30, s1, v30, v19, s1
	global_inv scope:SCOPE_SE
	s_add_nc_u64 s[2:3], s[12:13], 0x888
	v_lshrrev_b32_e32 v19, 16, v32
	v_lshrrev_b32_e32 v36, 16, v34
	;; [unrolled: 1-line block ×20, first 2 shown]
	v_mul_f16_e32 v127, v36, v103
	v_mul_f16_e64 v128, v34, v103
	v_mul_f16_e64 v129, v38, v102
	;; [unrolled: 1-line block ×21, first 2 shown]
	v_fma_f16 v34, v34, v0, -v127
	v_fmac_f16_e64 v128, v36, v0
	v_fma_f16 v36, v91, v1, -v129
	v_fmac_f16_e64 v130, v38, v1
	v_fma_f16 v38, v93, v2, -v131
	v_fma_f16 v91, v95, v3, -v133
	;; [unrolled: 1-line block ×3, first 2 shown]
	v_fmac_f16_e64 v136, v109, v17
	v_fma_f16 v95, v106, v18, -v137
	v_fmac_f16_e64 v138, v110, v18
	v_mul_f16_e64 v144, v94, v101
	v_mul_f16_e64 v146, v96, v100
	v_fmac_f16_e64 v132, v97, v2
	v_fmac_f16_e64 v134, v108, v3
	v_fma_f16 v35, v35, v0, -v139
	v_fmac_f16_e64 v140, v42, v0
	v_fma_f16 v42, v92, v1, -v141
	;; [unrolled: 2-line block ×3, first 2 shown]
	v_fma_f16 v92, v96, v3, -v145
	v_fma_f16 v94, v105, v17, -v147
	v_fmac_f16_e64 v148, v125, v17
	v_fma_f16 v96, v107, v18, -v149
	v_fmac_f16_e64 v150, v126, v18
	v_add_f16_e32 v97, v34, v95
	v_add_f16_e64 v104, v128, v138
	v_add_f16_e32 v105, v36, v93
	v_add_f16_e64 v106, v130, v136
	v_fmac_f16_e64 v144, v122, v2
	v_fmac_f16_e64 v146, v124, v3
	v_sub_f16_e32 v34, v34, v95
	v_sub_f16_e64 v95, v128, v138
	v_sub_f16_e32 v36, v36, v93
	v_sub_f16_e64 v93, v130, v136
	v_add_f16_e32 v107, v38, v91
	v_add_f16_e64 v108, v132, v134
	v_sub_f16_e32 v38, v91, v38
	v_sub_f16_e64 v91, v134, v132
	v_add_f16_e32 v109, v35, v96
	v_add_f16_e64 v110, v140, v150
	v_add_f16_e32 v122, v42, v94
	v_add_f16_e64 v124, v142, v148
	v_sub_f16_e32 v35, v35, v96
	v_sub_f16_e32 v42, v42, v94
	v_add_f16_e32 v125, v72, v92
	v_sub_f16_e32 v72, v92, v72
	v_add_f16_e32 v127, v105, v97
	v_add_f16_e64 v128, v106, v104
	v_sub_f16_e64 v96, v140, v150
	v_sub_f16_e64 v94, v142, v148
	v_sub_f16_e64 v92, v146, v144
	v_add_f16_e64 v126, v144, v146
	v_sub_f16_e64 v129, v105, v97
	v_sub_f16_e64 v130, v106, v104
	v_sub_f16_e32 v97, v97, v107
	v_sub_f16_e32 v104, v104, v108
	;; [unrolled: 1-line block ×4, first 2 shown]
	v_add_f16_e64 v131, v38, v36
	v_add_f16_e64 v132, v91, v93
	v_sub_f16_e64 v133, v38, v36
	v_sub_f16_e64 v134, v91, v93
	v_sub_f16_e32 v36, v36, v34
	v_sub_f16_e32 v93, v93, v95
	v_add_f16_e64 v135, v122, v109
	v_add_f16_e64 v136, v124, v110
	;; [unrolled: 1-line block ×3, first 2 shown]
	v_sub_f16_e64 v141, v72, v42
	v_sub_f16_e32 v42, v42, v35
	v_add_f16_e32 v107, v107, v127
	v_add_f16_e64 v108, v108, v128
	v_add_f16_e64 v140, v92, v94
	v_sub_f16_e64 v142, v92, v94
	v_sub_f16_e32 v94, v94, v96
	v_sub_f16_e32 v38, v34, v38
	;; [unrolled: 1-line block ×3, first 2 shown]
	v_sub_f16_e64 v137, v122, v109
	v_sub_f16_e64 v138, v124, v110
	v_sub_f16_e32 v109, v109, v125
	v_sub_f16_e32 v110, v110, v126
	;; [unrolled: 1-line block ×4, first 2 shown]
	v_add_f16_e64 v34, v131, v34
	v_add_f16_e64 v95, v132, v95
	v_mul_f16_e32 v97, 0x3a52, v97
	v_mul_f16_e32 v104, 0x3a52, v104
	;; [unrolled: 1-line block ×3, first 2 shown]
	v_mul_f16_e64 v128, 0x2b26, v106
	v_mul_f16_e64 v131, 0xb846, v133
	;; [unrolled: 1-line block ×5, first 2 shown]
	v_add_f16_e64 v125, v125, v135
	v_add_f16_e64 v126, v126, v136
	v_sub_f16_e32 v72, v35, v72
	v_add_f16_e64 v35, v139, v35
	v_mul_f16_e64 v139, 0xb846, v141
	v_mul_f16_e64 v141, 0x3b00, v42
	v_add_f16_e32 v32, v32, v107
	v_add_f16_e32 v19, v19, v108
	v_sub_f16_e32 v92, v96, v92
	v_add_f16_e64 v96, v140, v96
	v_mul_f16_e64 v140, 0xb846, v142
	v_mul_f16_e64 v142, 0x3b00, v94
	v_mul_f16_e32 v109, 0x3a52, v109
	v_mul_f16_e32 v110, 0x3a52, v110
	v_mul_f16_e64 v135, 0x2b26, v122
	v_mul_f16_e64 v136, 0x2b26, v124
	v_fmamk_f16 v105, v105, 0x2b26, v97
	v_fmamk_f16 v106, v106, 0x2b26, v104
	v_fma_f16 v127, v129, 0x39e0, -v127
	v_fma_f16 v128, v130, 0x39e0, -v128
	;; [unrolled: 1-line block ×4, first 2 shown]
	v_fma_f16 v129, 0x3574, v38, v131
	v_fma_f16 v130, 0x3574, v91, v132
	v_fma_f16 v36, v36, 0x3b00, -v131
	v_fma_f16 v93, v93, 0x3b00, -v132
	;; [unrolled: 1-line block ×4, first 2 shown]
	v_add_f16_e32 v33, v33, v125
	v_add_f16_e32 v40, v40, v126
	v_fma_f16 v133, 0x3574, v72, v139
	v_fma_f16 v42, v42, 0x3b00, -v139
	v_fma_f16 v72, v72, 0xb574, -v141
	v_fmamk_f16 v107, v107, 0xbcab, v32
	v_fmamk_f16 v108, v108, 0xbcab, v19
	v_fma_f16 v134, 0x3574, v92, v140
	v_fma_f16 v94, v94, 0x3b00, -v140
	v_fma_f16 v92, v92, 0xb574, -v142
	v_fmamk_f16 v122, v122, 0x2b26, v109
	v_fmamk_f16 v124, v124, 0x2b26, v110
	v_fma_f16 v131, v137, 0x39e0, -v135
	v_fma_f16 v132, v138, 0x39e0, -v136
	;; [unrolled: 1-line block ×4, first 2 shown]
	v_fmac_f16_e64 v129, 0x370e, v34
	v_fmac_f16_e64 v130, 0x370e, v95
	v_fmac_f16_e32 v36, 0x370e, v34
	v_fmac_f16_e32 v93, 0x370e, v95
	;; [unrolled: 1-line block ×4, first 2 shown]
	v_fmamk_f16 v34, v125, 0xbcab, v33
	v_fmamk_f16 v95, v126, 0xbcab, v40
	v_fmac_f16_e64 v133, 0x370e, v35
	v_fmac_f16_e32 v42, 0x370e, v35
	v_fmac_f16_e32 v72, 0x370e, v35
	v_pack_b32_f16 v19, v32, v19
	v_pack_b32_f16 v32, v33, v40
	v_add_f16_e32 v33, v105, v107
	v_add_f16_e32 v35, v106, v108
	v_fmac_f16_e64 v134, 0x370e, v96
	v_fmac_f16_e32 v94, 0x370e, v96
	v_fmac_f16_e32 v92, 0x370e, v96
	v_add_f16_e32 v40, v127, v107
	v_add_f16_e64 v96, v128, v108
	v_add_f16_e32 v97, v97, v107
	v_add_f16_e32 v104, v104, v108
	;; [unrolled: 1-line block ×4, first 2 shown]
	v_add_f16_e64 v107, v131, v34
	v_add_f16_e64 v108, v132, v95
	v_add_f16_e32 v34, v109, v34
	v_add_f16_e32 v95, v110, v95
	v_add_f16_e64 v109, v130, v33
	v_sub_f16_e64 v110, v35, v129
	v_add_f16_e32 v122, v91, v97
	v_sub_f16_e32 v124, v104, v38
	v_sub_f16_e32 v125, v40, v93
	v_add_f16_e32 v126, v36, v96
	v_add_f16_e32 v40, v93, v40
	v_sub_f16_e32 v36, v96, v36
	v_sub_f16_e32 v91, v97, v91
	v_add_f16_e32 v38, v38, v104
	v_sub_f16_e64 v33, v33, v130
	v_add_f16_e64 v35, v129, v35
	v_add_f16_e64 v93, v134, v105
	v_sub_f16_e64 v96, v106, v133
	v_add_f16_e32 v97, v92, v34
	v_sub_f16_e32 v104, v95, v72
	v_sub_f16_e32 v127, v107, v94
	v_add_f16_e64 v128, v42, v108
	v_add_f16_e32 v94, v94, v107
	v_sub_f16_e32 v42, v108, v42
	v_sub_f16_e32 v34, v34, v92
	v_add_f16_e32 v72, v72, v95
	v_sub_f16_e64 v92, v105, v134
	v_add_f16_e64 v95, v133, v106
	v_pack_b32_f16 v105, v109, v110
	v_pack_b32_f16 v106, v122, v124
	;; [unrolled: 1-line block ×12, first 2 shown]
	ds_store_2addr_b32 v43, v19, v105 offset1:39
	ds_store_2addr_b32 v43, v106, v107 offset0:78 offset1:117
	ds_store_2addr_b32 v43, v36, v38 offset0:156 offset1:195
	;; [unrolled: 1-line block ×6, first 2 shown]
	global_wb scope:SCOPE_SE
	s_wait_dscnt 0x0
	s_barrier_signal -1
	s_barrier_wait -1
	global_inv scope:SCOPE_SE
	s_clause 0x6
	global_load_b32 v95, v[29:30], off offset:1040
	global_load_b32 v91, v[29:30], off offset:1196
	;; [unrolled: 1-line block ×7, first 2 shown]
	ds_load_2addr_b32 v[29:30], v43 offset1:39
	ds_load_2addr_b32 v[32:33], v31 offset0:106 offset1:145
	ds_load_2addr_b32 v[34:35], v39 offset0:56 offset1:95
	;; [unrolled: 1-line block ×6, first 2 shown]
	v_lshl_add_u32 v72, v63, 2, v71
	s_delay_alu instid0(VALU_DEP_1)
	v_add_nc_u32_e32 v36, 0x400, v72
	s_wait_dscnt 0x6
	v_lshrrev_b32_e32 v38, 16, v29
	s_wait_dscnt 0x5
	v_lshrrev_b32_e32 v19, 16, v33
	;; [unrolled: 2-line block ×3, first 2 shown]
	v_lshrrev_b32_e32 v122, 16, v35
	s_wait_dscnt 0x2
	v_lshrrev_b32_e32 v134, 16, v126
	v_lshrrev_b32_e32 v136, 16, v127
	s_wait_dscnt 0x0
	v_lshrrev_b32_e32 v138, 16, v130
	v_lshrrev_b32_e32 v140, 16, v131
	;; [unrolled: 1-line block ×8, first 2 shown]
	s_wait_loadcnt 0x6
	v_lshrrev_b32_e32 v110, 16, v95
	s_wait_loadcnt 0x5
	v_lshrrev_b32_e32 v109, 16, v91
	;; [unrolled: 2-line block ×7, first 2 shown]
	v_mul_f16_e64 v141, v19, v110
	v_mul_f16_e64 v142, v33, v110
	;; [unrolled: 1-line block ×14, first 2 shown]
	v_fma_f16 v33, v33, v95, -v141
	v_fmac_f16_e64 v142, v19, v95
	v_fma_f16 v19, v34, v91, -v143
	v_fmac_f16_e64 v144, v42, v91
	;; [unrolled: 2-line block ×7, first 2 shown]
	v_sub_f16_e32 v33, v29, v33
	v_sub_f16_e64 v127, v38, v142
	v_sub_f16_e64 v130, v30, v19
	;; [unrolled: 1-line block ×3, first 2 shown]
	v_sub_f16_e32 v34, v124, v34
	v_sub_f16_e64 v134, v132, v146
	v_sub_f16_e32 v35, v125, v35
	v_sub_f16_e64 v136, v133, v148
	v_sub_f16_e64 v42, v128, v42
	;; [unrolled: 1-line block ×5, first 2 shown]
	v_sub_f16_e32 v19, v32, v126
	v_sub_f16_e64 v122, v139, v154
	v_fma_f16 v29, v29, 2.0, -v33
	v_fma_f16 v38, v38, 2.0, -v127
	;; [unrolled: 1-line block ×6, first 2 shown]
	v_pack_b32_f16 v33, v33, v127
	v_pack_b32_f16 v127, v130, v131
	v_fma_f16 v125, v125, 2.0, -v35
	v_fma_f16 v132, v133, 2.0, -v136
	;; [unrolled: 1-line block ×6, first 2 shown]
	v_pack_b32_f16 v34, v34, v134
	v_pack_b32_f16 v35, v35, v136
	v_fma_f16 v32, v32, 2.0, -v19
	v_fma_f16 v137, v139, 2.0, -v122
	v_pack_b32_f16 v30, v30, v40
	ds_store_2addr_b32 v36, v33, v127 offset0:17 offset1:56
	v_pack_b32_f16 v33, v124, v126
	v_pack_b32_f16 v29, v29, v38
	;; [unrolled: 1-line block ×5, first 2 shown]
	ds_store_2addr_b32 v36, v34, v35 offset0:95 offset1:134
	v_pack_b32_f16 v34, v129, v135
	v_pack_b32_f16 v130, v140, v141
	;; [unrolled: 1-line block ×4, first 2 shown]
	ds_store_2addr_b32 v72, v30, v33 offset0:39 offset1:78
	ds_store_2addr_b32 v72, v38, v40 offset0:117 offset1:156
	ds_store_b32 v72, v42 offset:1716
	ds_store_b32 v72, v34 offset:780
	ds_store_b32 v43, v29
	ds_store_b32 v43, v130 offset:1872
	ds_store_b32 v72, v32 offset:936
	;; [unrolled: 1-line block ×3, first 2 shown]
	global_wb scope:SCOPE_SE
	s_wait_dscnt 0x0
	s_barrier_signal -1
	s_barrier_wait -1
	global_inv scope:SCOPE_SE
	s_clause 0xc
	global_load_b32 v36, v[4:5], off offset:2184
	global_load_b32 v38, v37, s[2:3] offset:168
	global_load_b32 v40, v37, s[2:3] offset:336
	;; [unrolled: 1-line block ×12, first 2 shown]
	ds_load_2addr_b32 v[29:30], v43 offset1:42
	ds_load_2addr_b32 v[32:33], v43 offset0:84 offset1:126
	ds_load_2addr_b32 v[34:35], v43 offset0:168 offset1:210
	;; [unrolled: 1-line block ×5, first 2 shown]
	ds_load_b32 v139, v43 offset:2016
	s_wait_dscnt 0x6
	v_lshrrev_b32_e32 v140, 16, v29
	v_lshrrev_b32_e32 v141, 16, v30
	s_wait_dscnt 0x5
	v_lshrrev_b32_e32 v142, 16, v32
	v_lshrrev_b32_e32 v143, 16, v33
	;; [unrolled: 3-line block ×6, first 2 shown]
	s_wait_dscnt 0x0
	v_lshrrev_b32_e32 v152, 16, v139
	s_wait_loadcnt 0xc
	v_lshrrev_b32_e32 v153, 16, v36
	s_wait_loadcnt 0xb
	;; [unrolled: 2-line block ×13, first 2 shown]
	v_lshrrev_b32_e32 v165, 16, v138
	v_mul_f16_e64 v166, v140, v153
	v_mul_f16_e64 v153, v29, v153
	;; [unrolled: 1-line block ×26, first 2 shown]
	v_fma_f16 v29, v29, v36, -v166
	v_fmac_f16_e64 v153, v140, v36
	v_fma_f16 v30, v30, v38, -v167
	v_fmac_f16_e64 v154, v141, v38
	;; [unrolled: 2-line block ×13, first 2 shown]
	v_pack_b32_f16 v29, v29, v153
	v_pack_b32_f16 v30, v30, v154
	;; [unrolled: 1-line block ×13, first 2 shown]
	ds_store_2addr_b32 v43, v29, v30 offset1:42
	ds_store_2addr_b32 v43, v32, v33 offset0:84 offset1:126
	ds_store_2addr_b32 v43, v34, v35 offset0:168 offset1:210
	;; [unrolled: 1-line block ×5, first 2 shown]
	ds_store_b32 v43, v126 offset:2016
	s_and_saveexec_b32 s1, vcc_lo
	s_cbranch_execz .LBB0_13
; %bb.12:
	s_wait_alu 0xfffe
	v_add_co_u32 v29, s2, s2, v37
	s_wait_alu 0xf1ff
	v_add_co_ci_u32_e64 v30, null, s3, 0, s2
	v_add_nc_u32_e32 v137, 0x600, v43
	s_clause 0xc
	global_load_b32 v32, v[29:30], off offset:156
	global_load_b32 v38, v[29:30], off offset:324
	;; [unrolled: 1-line block ×13, first 2 shown]
	ds_load_b32 v29, v72 offset:156
	s_wait_dscnt 0x0
	v_lshrrev_b32_e32 v30, 16, v29
	s_wait_loadcnt 0xc
	v_lshrrev_b32_e32 v33, 16, v32
	s_wait_loadcnt 0xb
	;; [unrolled: 2-line block ×5, first 2 shown]
	v_lshrrev_b32_e32 v141, 16, v128
	v_mul_f16_e32 v34, v30, v33
	v_mul_f16_e32 v33, v29, v33
	s_wait_loadcnt 0x7
	v_lshrrev_b32_e32 v142, 16, v129
	s_wait_loadcnt 0x6
	v_lshrrev_b32_e32 v143, 16, v130
	;; [unrolled: 2-line block ×3, first 2 shown]
	v_fma_f16 v29, v29, v32, -v34
	v_fmac_f16_e32 v33, v30, v32
	s_wait_loadcnt 0x4
	v_lshrrev_b32_e32 v145, 16, v132
	s_wait_loadcnt 0x3
	v_lshrrev_b32_e32 v146, 16, v133
	;; [unrolled: 2-line block ×4, first 2 shown]
	v_pack_b32_f16 v29, v29, v33
	s_wait_loadcnt 0x0
	v_lshrrev_b32_e32 v149, 16, v136
	ds_store_b32 v72, v29 offset:156
	ds_load_2addr_b32 v[29:30], v43 offset0:81 offset1:123
	ds_load_2addr_b32 v[32:33], v43 offset0:165 offset1:207
	;; [unrolled: 1-line block ×6, first 2 shown]
	s_wait_dscnt 0x5
	v_lshrrev_b32_e32 v150, 16, v29
	v_lshrrev_b32_e32 v152, 16, v30
	s_wait_dscnt 0x4
	v_lshrrev_b32_e32 v154, 16, v32
	v_lshrrev_b32_e32 v156, 16, v33
	;; [unrolled: 3-line block ×5, first 2 shown]
	v_mul_f16_e64 v151, v29, v138
	v_mul_f16_e64 v153, v30, v139
	s_wait_dscnt 0x0
	v_lshrrev_b32_e32 v170, 16, v126
	v_lshrrev_b32_e32 v172, 16, v127
	v_mul_f16_e64 v138, v150, v138
	v_mul_f16_e64 v139, v152, v139
	;; [unrolled: 1-line block ×20, first 2 shown]
	v_fmac_f16_e64 v151, v150, v38
	v_fmac_f16_e64 v153, v152, v40
	v_mul_f16_e64 v148, v170, v148
	v_mul_f16_e64 v149, v172, v149
	v_fma_f16 v29, v29, v38, -v138
	v_fma_f16 v30, v30, v40, -v139
	v_fmac_f16_e64 v155, v154, v42
	v_fmac_f16_e64 v157, v156, v128
	v_fma_f16 v32, v32, v42, -v140
	v_fma_f16 v33, v33, v128, -v141
	v_fmac_f16_e64 v159, v158, v129
	v_fmac_f16_e64 v161, v160, v130
	;; [unrolled: 4-line block ×5, first 2 shown]
	v_fma_f16 v42, v126, v135, -v148
	v_fma_f16 v124, v127, v136, -v149
	v_pack_b32_f16 v29, v29, v151
	v_pack_b32_f16 v30, v30, v153
	;; [unrolled: 1-line block ×12, first 2 shown]
	ds_store_2addr_b32 v43, v29, v30 offset0:81 offset1:123
	ds_store_2addr_b32 v43, v32, v33 offset0:165 offset1:207
	;; [unrolled: 1-line block ×6, first 2 shown]
.LBB0_13:
	s_wait_alu 0xfffe
	s_or_b32 exec_lo, exec_lo, s1
	global_wb scope:SCOPE_SE
	s_wait_dscnt 0x0
	s_barrier_signal -1
	s_barrier_wait -1
	global_inv scope:SCOPE_SE
	ds_load_2addr_b32 v[29:30], v43 offset1:42
	ds_load_2addr_b32 v[37:38], v43 offset0:84 offset1:126
	ds_load_2addr_b32 v[33:34], v43 offset0:168 offset1:210
	;; [unrolled: 1-line block ×5, first 2 shown]
	ds_load_b32 v145, v43 offset:2016
	v_lshrrev_b32_e32 v42, 16, v113
	s_and_saveexec_b32 s1, vcc_lo
	s_cbranch_execz .LBB0_15
; %bb.14:
	v_add_nc_u32_e32 v23, 0x400, v72
	ds_load_2addr_b32 v[19:20], v72 offset0:39 offset1:81
	ds_load_2addr_b32 v[27:28], v72 offset0:123 offset1:165
	;; [unrolled: 1-line block ×6, first 2 shown]
	ds_load_b32 v111, v72 offset:2172
	s_wait_dscnt 0x5
	v_lshrrev_b32_e32 v120, 16, v27
	v_lshrrev_b32_e32 v118, 16, v28
	s_wait_dscnt 0x4
	v_lshrrev_b32_e32 v119, 16, v21
	v_lshrrev_b32_e32 v122, 16, v19
	;; [unrolled: 1-line block ×4, first 2 shown]
	s_wait_dscnt 0x3
	v_lshrrev_b32_e32 v113, 16, v41
	v_lshrrev_b32_e32 v114, 16, v42
	s_wait_dscnt 0x2
	v_lshrrev_b32_e32 v117, 16, v25
	v_lshrrev_b32_e32 v121, 16, v26
	;; [unrolled: 3-line block ×3, first 2 shown]
	s_wait_dscnt 0x0
	v_bfi_b32 v41, 0xffff, v41, v111
.LBB0_15:
	s_wait_alu 0xfffe
	s_or_b32 exec_lo, exec_lo, s1
	v_add_f16_e32 v124, v20, v19
	v_add_f16_e32 v126, v123, v122
	;; [unrolled: 1-line block ×3, first 2 shown]
	v_sub_f16_e64 v129, v20, v111
	v_add_f16_e64 v136, v112, v120
	v_add_f16_e32 v127, v27, v124
	v_add_f16_e32 v20, v120, v126
	v_sub_f16_e64 v133, v120, v112
	v_add_f16_e64 v137, v115, v118
	v_sub_f16_e64 v134, v118, v115
	v_add_f16_e32 v126, v28, v127
	v_add_f16_e32 v20, v118, v20
	;; [unrolled: 1-line block ×3, first 2 shown]
	v_sub_f16_e64 v130, v27, v24
	v_add_f16_e32 v27, v23, v28
	v_add_f16_e32 v120, v21, v126
	v_sub_f16_e64 v131, v28, v23
	v_add_f16_e32 v20, v119, v20
	v_add_f16_e32 v28, v26, v21
	v_sub_f16_e64 v132, v21, v26
	v_add_f16_e32 v118, v22, v120
	v_lshrrev_b32_e32 v142, 16, v41
	v_add_f16_e32 v20, v116, v20
	v_mul_f16_e64 v128, 0xb770, v129
	v_mul_f16_e64 v120, 0xba95, v133
	v_add_f16_e32 v21, v41, v118
	v_sub_f16_e64 v138, v123, v142
	v_add_f16_e32 v20, v113, v20
	v_add_f16_e64 v139, v142, v123
	s_wait_dscnt 0x6
	v_pk_add_f16 v140, v29, v30
	v_add_f16_e32 v21, v42, v21
	v_mul_f16_e64 v127, 0xb770, v138
	v_add_f16_e32 v20, v114, v20
	v_fma_f16 v141, v139, 0x3b15, -v128
	v_mul_f16_e64 v118, 0xbbf1, v134
	v_add_f16_e32 v21, v25, v21
	v_fma_f16 v144, 0x3b15, v125, v127
	v_add_f16_e32 v20, v117, v20
	v_mul_f16_e64 v126, 0xba95, v130
	v_fma_f16 v146, 0x2fb7, v27, v118
	v_add_f16_e32 v21, v26, v21
	v_fmamk_f16 v26, v124, 0x388b, v120
	v_add_f16_e32 v20, v121, v20
	v_mul_f16_e64 v123, 0xbbf1, v131
	v_fma_f16 v143, v136, 0x388b, -v126
	v_add_f16_e32 v21, v23, v21
	v_add_f16_e64 v23, v122, v141
	v_add_f16_e64 v141, v19, v144
	v_add_f16_e32 v20, v115, v20
	v_sub_f16_e64 v135, v119, v121
	v_add_f16_e32 v21, v24, v21
	v_fma_f16 v115, v137, 0x2fb7, -v123
	v_add_f16_e64 v26, v26, v141
	v_add_f16_e32 v20, v112, v20
	v_add_f16_e64 v143, v143, v23
	v_add_f16_e32 v21, v111, v21
	s_wait_dscnt 0x5
	v_pk_add_f16 v111, v140, v37
	v_add_f16_e64 v112, v146, v26
	v_add_f16_e32 v121, v121, v119
	v_mul_f16_e64 v24, 0xbb7b, v132
	v_sub_f16_e32 v119, v22, v25
	v_pk_add_f16 v26, v111, v38
	v_mul_f16_e64 v23, 0xbb7b, v135
	v_add_f16_e64 v115, v115, v143
	v_fma_f16 v144, v121, 0xb5ac, -v24
	v_sub_f16_e64 v140, v116, v117
	s_wait_dscnt 0x4
	v_pk_add_f16 v111, v26, v33
	v_add_f16_e64 v141, v117, v116
	v_mul_f16_e32 v26, 0xb94e, v119
	v_fma_f16 v143, 0xb5ac, v28, v23
	v_add_f16_e32 v25, v25, v22
	v_pk_add_f16 v111, v111, v34
	v_mul_f16_e64 v22, 0xb94e, v140
	v_add_f16_e64 v144, v144, v115
	v_fma_f16 v147, v141, 0xb9fd, -v26
	v_sub_f16_e32 v117, v113, v114
	s_wait_dscnt 0x3
	v_pk_add_f16 v111, v111, v31
	v_sub_f16_e32 v116, v41, v42
	v_add_f16_e32 v115, v42, v41
	v_add_f16_e64 v143, v143, v112
	v_fma_f16 v146, 0xb9fd, v25, v22
	v_pk_add_f16 v41, v111, v32
	v_add_f16_e32 v114, v114, v113
	v_mul_f16_e32 v112, 0xb3a8, v117
	v_mul_f16_e32 v113, 0xb3a8, v116
	v_add_f16_e64 v111, v147, v144
	s_wait_dscnt 0x2
	v_pk_add_f16 v147, v41, v35
	v_add_f16_e64 v42, v146, v143
	v_fma_f16 v144, 0xbbc4, v115, v112
	v_fma_f16 v146, v114, 0xbbc4, -v113
	v_add_f16_e64 v41, v142, v20
	s_wait_dscnt 0x0
	v_pk_add_f16 v143, v30, v145 neg_lo:[0,1] neg_hi:[0,1]
	v_pk_add_f16 v20, v147, v36
	v_add_f16_e64 v42, v144, v42
	v_add_f16_e64 v111, v146, v111
	v_pk_add_f16 v144, v145, v30
	v_pk_mul_f16 v30, 0xb770, v143 op_sel_hi:[0,1]
	v_lshrrev_b32_e32 v146, 16, v143
	v_pk_add_f16 v147, v20, v39
	v_pk_add_f16 v161, v37, v40 neg_lo:[0,1] neg_hi:[0,1]
	v_lshrrev_b32_e32 v149, 16, v144
	v_pk_fma_f16 v20, 0x3b15, v144, v30 op_sel:[0,0,1] op_sel_hi:[0,1,0]
	v_pk_fma_f16 v142, 0x3b15, v144, v30 op_sel:[0,0,1] op_sel_hi:[0,1,0] neg_lo:[0,0,1] neg_hi:[0,0,1]
	v_mul_f16_e64 v148, 0xba95, v146
	v_pk_add_f16 v30, v147, v40
	v_pk_add_f16 v37, v40, v37
	v_pk_mul_f16 v40, 0xba95, v161 op_sel_hi:[0,1]
	v_bfi_b32 v147, 0xffff, v20, v142
	v_fma_f16 v150, 0x388b, v144, v148
	v_mul_f16_e64 v151, 0x388b, v149
	v_mul_f16_e64 v155, 0x2fb7, v149
	;; [unrolled: 1-line block ×4, first 2 shown]
	v_lshrrev_b32_e32 v164, 16, v161
	v_pk_fma_f16 v165, 0x388b, v37, v40 op_sel:[0,0,1] op_sel_hi:[0,1,0]
	v_pk_fma_f16 v40, 0x388b, v37, v40 op_sel:[0,0,1] op_sel_hi:[0,1,0] neg_lo:[0,0,1] neg_hi:[0,0,1]
	v_lshrrev_b32_e32 v167, 16, v37
	v_pk_add_f16 v30, v30, v145
	v_pk_add_f16 v145, v29, v147
	v_add_f16_e64 v147, v29, v150
	v_mul_f16_e64 v150, 0xbbf1, v146
	v_fma_f16 v152, 0x3a95, v143, v151
	v_lshrrev_b32_e32 v153, 16, v29
	v_fma_f16 v148, v144, 0x388b, -v148
	v_fmac_f16_e64 v151, 0xba95, v143
	v_fma_f16 v156, 0x3bf1, v143, v155
	v_fmac_f16_e64 v155, 0xbbf1, v143
	v_fma_f16 v160, 0x3b7b, v143, v158
	;; [unrolled: 2-line block ×3, first 2 shown]
	v_mul_f16_e64 v166, 0xbb7b, v164
	v_fmac_f16_e64 v149, 0xb94e, v143
	v_bfi_b32 v168, 0xffff, v165, v40
	v_mul_f16_e64 v170, 0xb5ac, v167
	v_fma_f16 v154, 0x2fb7, v144, v150
	v_add_f16_e64 v152, v153, v152
	v_add_f16_e64 v148, v29, v148
	;; [unrolled: 1-line block ×3, first 2 shown]
	v_mul_f16_e64 v157, 0xbb7b, v146
	v_fma_f16 v150, v144, 0x2fb7, -v150
	v_add_f16_e64 v156, v153, v156
	v_add_f16_e64 v155, v153, v155
	;; [unrolled: 1-line block ×5, first 2 shown]
	v_fma_f16 v169, 0xb5ac, v37, v166
	v_add_f16_e64 v149, v153, v149
	v_pk_add_f16 v145, v168, v145
	v_mul_f16_e64 v153, 0xb3a8, v164
	v_fma_f16 v168, 0x3b7b, v161, v170
	v_fma_f16 v166, v37, 0xb5ac, -v166
	v_mul_f16_e64 v171, 0xbbc4, v167
	v_fma_f16 v159, 0xb5ac, v144, v157
	v_add_f16_e64 v150, v29, v150
	v_fma_f16 v157, v144, 0xb5ac, -v157
	v_mul_f16_e64 v146, 0xb94e, v146
	v_add_f16_e64 v147, v169, v147
	v_fma_f16 v169, 0xbbc4, v37, v153
	v_add_f16_e64 v152, v168, v152
	v_add_f16_e64 v148, v166, v148
	v_fma_f16 v166, 0x33a8, v161, v171
	v_mul_f16_e64 v168, 0x394e, v164
	v_fma_f16 v153, v37, 0xbbc4, -v153
	v_fmac_f16_e64 v171, 0xb3a8, v161
	v_add_f16_e64 v154, v29, v154
	v_add_f16_e64 v159, v29, v159
	;; [unrolled: 1-line block ×3, first 2 shown]
	v_fma_f16 v162, 0xb9fd, v144, v146
	v_add_f16_e64 v156, v166, v156
	v_fma_f16 v166, 0xb9fd, v37, v168
	v_add_f16_e64 v150, v153, v150
	v_add_f16_e64 v153, v171, v155
	v_fma_f16 v155, v37, 0xb9fd, -v168
	v_mul_f16_e64 v164, 0x3bf1, v164
	v_add_f16_e64 v162, v29, v162
	v_fmac_f16_e64 v170, 0xbb7b, v161
	v_add_f16_e64 v154, v169, v154
	v_mul_f16_e64 v169, 0xb9fd, v167
	v_add_f16_e64 v159, v166, v159
	v_mul_f16_e64 v166, 0x2fb7, v167
	v_add_f16_e64 v155, v155, v157
	v_pk_add_f16 v157, v38, v39 neg_lo:[0,1] neg_hi:[0,1]
	v_fma_f16 v167, 0x2fb7, v37, v164
	v_fma_f16 v146, v144, 0xb9fd, -v146
	v_add_f16_e64 v151, v170, v151
	v_fma_f16 v170, 0xb94e, v161, v169
	v_fmac_f16_e64 v169, 0x394e, v161
	v_pk_add_f16 v38, v39, v38
	v_add_f16_e64 v162, v167, v162
	v_lshrrev_b32_e32 v167, 16, v157
	v_add_f16_e64 v146, v29, v146
	v_add_f16_e64 v160, v170, v160
	;; [unrolled: 1-line block ×3, first 2 shown]
	v_fma_f16 v164, v37, 0x2fb7, -v164
	v_mul_f16_e64 v169, 0xb3a8, v167
	v_lshrrev_b32_e32 v170, 16, v38
	v_fma_f16 v168, 0xbbf1, v161, v166
	v_pk_mul_f16 v39, 0xbbf1, v157 op_sel_hi:[0,1]
	v_add_f16_e64 v146, v164, v146
	v_fma_f16 v164, 0xbbc4, v38, v169
	v_mul_f16_e64 v172, 0xbbc4, v170
	v_add_f16_e64 v163, v168, v163
	v_pk_fma_f16 v168, 0x2fb7, v38, v39 op_sel:[0,0,1] op_sel_hi:[0,1,0]
	v_pk_fma_f16 v39, 0x2fb7, v38, v39 op_sel:[0,0,1] op_sel_hi:[0,1,0] neg_lo:[0,0,1] neg_hi:[0,0,1]
	v_fmac_f16_e64 v166, 0x3bf1, v161
	v_add_f16_e64 v147, v164, v147
	v_fma_f16 v164, 0x33a8, v157, v172
	v_fma_f16 v169, v38, 0xbbc4, -v169
	v_mul_f16_e64 v173, 0xb5ac, v170
	v_bfi_b32 v171, 0xffff, v168, v39
	v_add_f16_e64 v149, v166, v149
	v_mul_f16_e64 v166, 0x3b7b, v167
	v_add_f16_e64 v152, v164, v152
	v_add_f16_e64 v148, v169, v148
	v_fma_f16 v164, 0xbb7b, v157, v173
	v_mul_f16_e64 v169, 0x3770, v167
	v_pk_add_f16 v145, v171, v145
	v_fma_f16 v171, 0xb5ac, v38, v166
	v_fma_f16 v166, v38, 0xb5ac, -v166
	v_add_f16_e64 v156, v164, v156
	v_fma_f16 v164, 0x3b15, v38, v169
	v_fmac_f16_e64 v172, 0xb3a8, v157
	v_add_f16_e64 v154, v171, v154
	v_add_f16_e64 v150, v166, v150
	v_fma_f16 v166, v38, 0x3b15, -v169
	v_add_f16_e64 v159, v164, v159
	v_mul_f16_e64 v164, 0xba95, v167
	v_mul_f16_e64 v171, 0x3b15, v170
	v_add_f16_e64 v151, v172, v151
	v_add_f16_e64 v155, v166, v155
	v_pk_add_f16 v166, v33, v36 neg_lo:[0,1] neg_hi:[0,1]
	v_fma_f16 v169, 0x388b, v38, v164
	v_fma_f16 v172, 0xb770, v157, v171
	v_fmac_f16_e64 v171, 0x3770, v157
	v_pk_add_f16 v33, v36, v33
	v_mul_f16_e64 v167, 0x388b, v170
	v_add_f16_e64 v162, v169, v162
	v_lshrrev_b32_e32 v169, 16, v166
	v_add_f16_e64 v160, v172, v160
	v_add_f16_e64 v158, v171, v158
	v_fma_f16 v164, v38, 0x388b, -v164
	v_lshrrev_b32_e32 v172, 16, v33
	v_mul_f16_e64 v171, 0x394e, v169
	v_fma_f16 v170, 0x3a95, v157, v167
	v_pk_mul_f16 v36, 0xbb7b, v166 op_sel_hi:[0,1]
	v_add_f16_e64 v146, v164, v146
	v_mul_f16_e64 v174, 0xb9fd, v172
	v_fma_f16 v164, 0xb9fd, v33, v171
	v_fmac_f16_e64 v173, 0x3b7b, v157
	v_add_f16_e64 v163, v170, v163
	v_pk_fma_f16 v170, 0xb5ac, v33, v36 op_sel:[0,0,1] op_sel_hi:[0,1,0]
	v_pk_fma_f16 v36, 0xb5ac, v33, v36 op_sel:[0,0,1] op_sel_hi:[0,1,0] neg_lo:[0,0,1] neg_hi:[0,0,1]
	v_fmac_f16_e64 v167, 0xba95, v157
	v_add_f16_e64 v147, v164, v147
	v_fma_f16 v164, 0xb94e, v166, v174
	v_fma_f16 v171, v33, 0xb9fd, -v171
	v_mul_f16_e64 v175, 0x3b15, v172
	v_add_f16_e64 v153, v173, v153
	v_bfi_b32 v173, 0xffff, v170, v36
	v_add_f16_e64 v149, v167, v149
	v_mul_f16_e64 v167, 0x3770, v169
	v_add_f16_e64 v152, v164, v152
	v_add_f16_e64 v148, v171, v148
	v_fma_f16 v164, 0xb770, v166, v175
	v_mul_f16_e64 v171, 0xbbf1, v169
	v_pk_add_f16 v145, v173, v145
	v_fma_f16 v173, 0x3b15, v33, v167
	v_fma_f16 v167, v33, 0x3b15, -v167
	v_add_f16_e64 v156, v164, v156
	v_fma_f16 v164, 0x2fb7, v33, v171
	v_fmac_f16_e64 v174, 0x394e, v166
	v_add_f16_e64 v154, v173, v154
	v_add_f16_e64 v150, v167, v150
	v_fma_f16 v167, v33, 0x2fb7, -v171
	v_add_f16_e64 v159, v164, v159
	v_mul_f16_e64 v164, 0x33a8, v169
	v_mul_f16_e64 v173, 0x2fb7, v172
	v_add_f16_e64 v151, v174, v151
	v_add_f16_e64 v155, v167, v155
	v_pk_add_f16 v167, v34, v35 neg_lo:[0,1] neg_hi:[0,1]
	v_fma_f16 v171, 0xbbc4, v33, v164
	v_fma_f16 v174, 0x3bf1, v166, v173
	v_mul_f16_e64 v169, 0xbbc4, v172
	v_fmac_f16_e64 v173, 0xbbf1, v166
	v_pk_add_f16 v34, v35, v34
	v_add_f16_e64 v162, v171, v162
	v_lshrrev_b32_e32 v171, 16, v167
	v_add_f16_e64 v160, v174, v160
	v_fma_f16 v172, 0xb3a8, v166, v169
	v_pk_mul_f16 v35, 0xb94e, v167 op_sel_hi:[0,1]
	v_add_f16_e64 v158, v173, v158
	v_fma_f16 v164, v33, 0xbbc4, -v164
	v_mul_f16_e64 v173, 0x3bf1, v171
	v_lshrrev_b32_e32 v174, 16, v34
	v_fmac_f16_e64 v175, 0x3770, v166
	v_add_f16_e64 v163, v172, v163
	v_pk_fma_f16 v172, 0xb9fd, v34, v35 op_sel:[0,0,1] op_sel_hi:[0,1,0]
	v_pk_fma_f16 v35, 0xb9fd, v34, v35 op_sel:[0,0,1] op_sel_hi:[0,1,0] neg_lo:[0,0,1] neg_hi:[0,0,1]
	v_fmac_f16_e64 v169, 0x33a8, v166
	v_add_f16_e64 v146, v164, v146
	v_fma_f16 v164, 0x2fb7, v34, v173
	v_mul_f16_e64 v176, 0x2fb7, v174
	v_add_f16_e64 v153, v175, v153
	v_bfi_b32 v175, 0xffff, v172, v35
	v_add_f16_e64 v149, v169, v149
	v_mul_f16_e64 v169, 0xba95, v171
	v_add_f16_e64 v147, v164, v147
	v_fma_f16 v164, 0xbbf1, v167, v176
	v_fma_f16 v173, v34, 0x2fb7, -v173
	v_mul_f16_e64 v177, 0x388b, v174
	v_pk_add_f16 v145, v175, v145
	v_fma_f16 v175, 0x388b, v34, v169
	v_add_f16_e64 v152, v164, v152
	v_add_f16_e64 v148, v173, v148
	v_fma_f16 v164, 0x3a95, v167, v177
	v_mul_f16_e64 v173, 0x33a8, v171
	v_fma_f16 v169, v34, 0x388b, -v169
	v_fmac_f16_e64 v176, 0x3bf1, v167
	v_add_f16_e64 v154, v175, v154
	v_add_f16_e64 v156, v164, v156
	v_fma_f16 v164, 0xbbc4, v34, v173
	v_add_f16_e64 v150, v169, v150
	v_fma_f16 v169, v34, 0xbbc4, -v173
	v_mul_f16_e64 v175, 0xbbc4, v174
	v_add_f16_e64 v151, v176, v151
	v_add_f16_e64 v159, v164, v159
	v_mul_f16_e64 v164, 0x3770, v171
	v_mul_f16_e64 v171, 0x3b15, v174
	v_add_f16_e64 v155, v169, v155
	v_pk_add_f16 v169, v31, v32 neg_lo:[0,1] neg_hi:[0,1]
	v_fma_f16 v176, 0xb3a8, v167, v175
	v_fmac_f16_e64 v175, 0x33a8, v167
	v_fma_f16 v173, 0x3b15, v34, v164
	v_fma_f16 v174, 0xb770, v167, v171
	v_pk_add_f16 v31, v32, v31
	v_pk_mul_f16 v32, 0xb3a8, v169 op_sel_hi:[0,1]
	v_fmac_f16_e64 v177, 0xba95, v167
	v_add_f16_e64 v158, v175, v158
	v_add_f16_e64 v162, v173, v162
	;; [unrolled: 1-line block ×3, first 2 shown]
	v_lshrrev_b32_e32 v173, 16, v169
	v_pk_fma_f16 v174, 0xbbc4, v31, v32 op_sel:[0,0,1] op_sel_hi:[0,1,0]
	v_pk_fma_f16 v32, 0xbbc4, v31, v32 op_sel:[0,0,1] op_sel_hi:[0,1,0] neg_lo:[0,0,1] neg_hi:[0,0,1]
	v_fma_f16 v164, v34, 0x3b15, -v164
	v_lshrrev_b32_e32 v175, 16, v31
	v_add_f16_e64 v153, v177, v153
	v_add_f16_e64 v160, v176, v160
	v_mul_f16_e64 v176, 0x3770, v173
	v_fmac_f16_e64 v171, 0x3770, v167
	v_bfi_b32 v177, 0xffff, v174, v32
	v_add_f16_e64 v146, v164, v146
	v_mul_f16_e64 v164, 0x3b15, v175
	v_fma_f16 v178, 0x3b15, v31, v176
	v_add_f16_e64 v149, v171, v149
	v_pk_add_f16 v145, v177, v145
	v_mul_f16_e64 v171, 0xb94e, v173
	v_fma_f16 v177, 0xb770, v169, v164
	v_fmac_f16_e64 v164, 0x3770, v169
	v_add_f16_e64 v147, v178, v147
	v_fma_f16 v176, v31, 0x3b15, -v176
	v_fma_f16 v178, 0xb9fd, v31, v171
	v_fma_f16 v171, v31, 0xb9fd, -v171
	v_add_f16_e64 v151, v164, v151
	v_mul_f16_e64 v164, 0x3a95, v173
	v_mul_f16_e64 v173, 0xbb7b, v173
	v_add_f16_e64 v154, v178, v154
	v_mul_f16_e64 v178, 0x388b, v175
	v_add_f16_e64 v152, v177, v152
	v_fma_f16 v179, 0x388b, v31, v164
	v_fma_f16 v164, v31, 0x388b, -v164
	v_mul_f16_e64 v177, 0xb9fd, v175
	v_add_f16_e64 v150, v171, v150
	v_fma_f16 v171, 0xba95, v169, v178
	v_pk_mul_f16 v144, 0xbbc4, v144 op_sel_hi:[0,1]
	v_add_f16_e64 v155, v164, v155
	v_fma_f16 v164, 0xb5ac, v31, v173
	v_add_f16_e64 v148, v176, v148
	v_fma_f16 v176, 0x394e, v169, v177
	v_add_f16_e64 v160, v171, v160
	v_mul_f16_e64 v171, 0xb5ac, v175
	v_fma_f16 v173, v31, 0xb5ac, -v173
	v_add_f16_e64 v162, v164, v162
	v_pk_fma_f16 v164, 0xb3a8, v143, v144 op_sel:[0,0,1] op_sel_hi:[0,1,0]
	v_pk_mul_f16 v37, 0x3b15, v37 op_sel_hi:[0,1]
	v_add_f16_e64 v156, v176, v156
	v_fma_f16 v175, 0x3b7b, v169, v171
	v_fmac_f16_e64 v171, 0xbb7b, v169
	v_add_f16_e64 v146, v173, v146
	v_alignbit_b32 v173, s0, v164, 16
	v_pk_fma_f16 v143, 0xb3a8, v143, v144 op_sel:[0,0,1] op_sel_hi:[0,1,0] neg_lo:[0,1,0] neg_hi:[0,1,0]
	v_pk_fma_f16 v144, 0x3770, v161, v37 op_sel:[0,0,1] op_sel_hi:[0,1,0]
	v_pk_mul_f16 v38, 0xb9fd, v38 op_sel_hi:[0,1]
	v_add_f16_e64 v149, v171, v149
	v_pack_b32_f16 v154, v154, v156
	v_pk_add_f16 v156, v29, v173
	v_alignbit_b32 v171, s0, v29, 16
	v_pk_add_f16 v143, v29, v143 op_sel:[1,0] op_sel_hi:[0,1]
	v_alignbit_b32 v173, s0, v144, 16
	v_pk_fma_f16 v37, 0x3770, v161, v37 op_sel:[0,0,1] op_sel_hi:[0,1,0] neg_lo:[0,1,0] neg_hi:[0,1,0]
	v_pk_fma_f16 v161, 0xb94e, v157, v38 op_sel:[0,0,1] op_sel_hi:[0,1,0]
	v_pk_mul_f16 v33, 0x388b, v33 op_sel_hi:[0,1]
	v_bfi_b32 v20, 0xffff, v142, v20
	v_pk_add_f16 v164, v171, v164
	v_pk_add_f16 v156, v173, v156
	;; [unrolled: 1-line block ×3, first 2 shown]
	v_alignbit_b32 v143, s0, v161, 16
	v_pk_fma_f16 v38, 0xb94e, v157, v38 op_sel:[0,0,1] op_sel_hi:[0,1,0] neg_lo:[0,1,0] neg_hi:[0,1,0]
	v_pk_fma_f16 v157, 0x3a95, v166, v33 op_sel:[0,0,1] op_sel_hi:[0,1,0]
	v_pk_mul_f16 v34, 0xb5ac, v34 op_sel_hi:[0,1]
	v_pk_add_f16 v20, v29, v20
	v_bfi_b32 v29, 0xffff, v40, v165
	v_pk_add_f16 v144, v144, v164
	v_pk_add_f16 v143, v143, v156
	;; [unrolled: 1-line block ×3, first 2 shown]
	v_alignbit_b32 v38, s0, v157, 16
	v_pk_fma_f16 v33, 0x3a95, v166, v33 op_sel:[0,0,1] op_sel_hi:[0,1,0] neg_lo:[0,1,0] neg_hi:[0,1,0]
	v_pk_fma_f16 v156, 0xbb7b, v167, v34 op_sel:[0,0,1] op_sel_hi:[0,1,0]
	v_pk_add_f16 v20, v29, v20
	v_bfi_b32 v29, 0xffff, v39, v168
	v_pk_add_f16 v144, v161, v144
	v_pk_add_f16 v38, v38, v143
	;; [unrolled: 1-line block ×3, first 2 shown]
	v_alignbit_b32 v37, s0, v156, 16
	v_pk_mul_f16 v31, 0x2fb7, v31 op_sel_hi:[0,1]
	v_pk_add_f16 v20, v29, v20
	v_bfi_b32 v29, 0xffff, v36, v170
	v_pk_add_f16 v40, v157, v144
	v_pk_fma_f16 v34, 0xbb7b, v167, v34 op_sel:[0,0,1] op_sel_hi:[0,1,0] neg_lo:[0,1,0] neg_hi:[0,1,0]
	v_pk_add_f16 v37, v37, v38
	v_pk_fma_f16 v38, 0x3bf1, v169, v31 op_sel:[0,0,1] op_sel_hi:[0,1,0]
	v_pk_add_f16 v20, v29, v20
	v_bfi_b32 v29, 0xffff, v35, v172
	v_pk_add_f16 v33, v34, v33
	v_pk_add_f16 v34, v156, v40
	v_alignbit_b32 v39, s0, v38, 16
	v_pk_fma_f16 v31, 0x3bf1, v169, v31 op_sel:[0,0,1] op_sel_hi:[0,1,0] neg_lo:[0,1,0] neg_hi:[0,1,0]
	v_fmac_f16_e64 v178, 0x3a95, v169
	v_fmac_f16_e64 v177, 0xb94e, v169
	v_pk_add_f16 v20, v29, v20
	v_bfi_b32 v29, 0xffff, v32, v174
	v_add_f16_e64 v159, v179, v159
	v_add_f16_e64 v163, v175, v163
	v_pk_add_f16 v37, v39, v37
	v_pk_add_f16 v31, v31, v33
	v_pk_add_f16 v33, v38, v34
	v_add_f16_e64 v158, v178, v158
	v_add_f16_e64 v153, v177, v153
	v_pk_add_f16 v20, v29, v20
	v_pack_b32_f16 v36, v147, v152
	v_pack_b32_f16 v34, v162, v163
	v_pack_b32_f16 v35, v159, v160
	v_alignbit_b32 v33, v33, v31, 16
	v_pack_b32_f16 v31, v37, v31
	v_pack_b32_f16 v32, v155, v158
	;; [unrolled: 1-line block ×3, first 2 shown]
	global_wb scope:SCOPE_SE
	s_barrier_signal -1
	s_barrier_wait -1
	global_inv scope:SCOPE_SE
	v_pack_b32_f16 v38, v148, v151
	v_pack_b32_f16 v39, v150, v153
	ds_store_2addr_b32 v74, v30, v145 offset1:1
	ds_store_2addr_b32 v74, v36, v154 offset0:2 offset1:3
	ds_store_2addr_b32 v74, v35, v34 offset0:4 offset1:5
	;; [unrolled: 1-line block ×5, first 2 shown]
	ds_store_b32 v74, v20 offset:48
	s_and_saveexec_b32 s1, vcc_lo
	s_cbranch_execz .LBB0_17
; %bb.16:
	v_mul_f16_e64 v142, 0xbbc4, v139
	v_mul_f16_e64 v143, 0x3b15, v136
	;; [unrolled: 1-line block ×5, first 2 shown]
	v_fma_f16 v31, 0x33a8, v129, v142
	v_fma_f16 v40, 0xb770, v130, v143
	;; [unrolled: 1-line block ×3, first 2 shown]
	v_mul_f16_e64 v145, 0xb3a8, v138
	v_fma_f16 v152, 0x3b7b, v119, v149
	v_add_f16_e32 v38, v122, v31
	v_mul_f16_e64 v154, 0xb9fd, v139
	v_mul_f16_e64 v148, 0x3770, v133
	v_fma_f16 v147, 0xbbc4, v125, v145
	v_mul_f16_e64 v158, 0x2fb7, v136
	v_add_f16_e32 v40, v40, v38
	v_fma_f16 v157, 0x394e, v129, v154
	v_fma_f16 v150, 0x3b15, v124, v148
	v_add_f16_e64 v147, v19, v147
	v_mul_f16_e64 v151, 0xb94e, v134
	v_add_f16_e32 v40, v74, v40
	v_fma_f16 v74, 0xba95, v132, v146
	v_mul_f16_e64 v159, 0x388b, v137
	v_add_f16_e64 v147, v150, v147
	v_fma_f16 v150, 0xb9fd, v27, v151
	v_mul_f16_e64 v153, 0x3a95, v135
	v_add_f16_e32 v74, v74, v40
	v_mul_f16_e64 v161, 0xbbc4, v121
	v_mul_f16_e64 v155, 0xbb7b, v140
	v_add_f16_e64 v147, v150, v147
	v_fma_f16 v150, 0x388b, v28, v153
	v_add_f16_e64 v74, v152, v74
	v_mul_f16_e64 v152, 0x2fb7, v114
	v_mul_f16_e64 v165, 0x3b15, v141
	;; [unrolled: 1-line block ×3, first 2 shown]
	v_add_f16_e64 v147, v150, v147
	v_fma_f16 v150, 0xb5ac, v25, v155
	v_fma_f16 v156, 0xbbf1, v116, v152
	v_mul_f16_e64 v164, 0x3bf1, v133
	v_fma_f16 v163, 0xb9fd, v125, v160
	v_mul_f16_e64 v168, 0xb5ac, v139
	v_add_f16_e64 v147, v150, v147
	v_add_f16_e64 v74, v156, v74
	;; [unrolled: 1-line block ×3, first 2 shown]
	v_fma_f16 v157, 0xbbf1, v130, v158
	v_mul_f16_e64 v150, 0x3bf1, v117
	v_add_f16_e64 v163, v19, v163
	v_fma_f16 v166, 0x2fb7, v124, v164
	v_mul_f16_e64 v167, 0xba95, v134
	v_add_f16_e64 v156, v157, v156
	v_fma_f16 v157, 0x3a95, v131, v159
	v_fma_f16 v162, 0x2fb7, v115, v150
	;; [unrolled: 1-line block ×3, first 2 shown]
	v_mul_f16_e64 v172, 0xb9fd, v136
	v_mul_f16_e64 v173, 0x3b15, v137
	v_add_f16_e64 v156, v157, v156
	v_fma_f16 v157, 0xb3a8, v132, v161
	v_add_f16_e64 v147, v162, v147
	v_add_f16_e64 v162, v166, v163
	v_fma_f16 v163, 0x388b, v27, v167
	v_mul_f16_e64 v166, 0x33a8, v135
	v_add_f16_e64 v156, v157, v156
	v_fma_f16 v157, 0xb770, v119, v165
	v_mul_f16_e64 v169, 0x3770, v140
	;; [unrolled: 3-line block ×3, first 2 shown]
	v_add_f16_e64 v156, v157, v156
	v_mul_f16_e64 v157, 0xb5ac, v114
	v_mul_f16_e64 v174, 0xbb7b, v138
	v_add_f16_e64 v162, v163, v162
	v_fma_f16 v163, 0x3b15, v25, v169
	v_mul_f16_e64 v179, 0xbbc4, v141
	v_fma_f16 v170, 0x3b7b, v116, v157
	v_fmac_f16_e64 v142, 0xb3a8, v129
	v_fma_f16 v177, 0xb5ac, v125, v174
	v_add_f16_e64 v162, v163, v162
	v_mul_f16_e64 v163, 0xbb7b, v117
	v_add_f16_e64 v156, v170, v156
	v_add_f16_e64 v170, v122, v171
	v_fma_f16 v171, 0xb94e, v130, v172
	v_mul_f16_e64 v178, 0x394e, v133
	v_add_f16_e64 v142, v122, v142
	v_fmac_f16_e64 v143, 0x3770, v130
	v_fma_f16 v176, 0xb5ac, v115, v163
	v_add_f16_e64 v170, v171, v170
	v_fma_f16 v171, 0xb770, v131, v173
	v_add_f16_e64 v177, v19, v177
	v_fma_f16 v180, 0xb9fd, v124, v178
	v_mul_f16_e64 v181, 0x3770, v134
	v_mul_f16_e64 v182, 0x2fb7, v139
	v_add_f16_e64 v170, v171, v170
	v_fma_f16 v171, 0x3bf1, v132, v175
	v_add_f16_e64 v142, v143, v142
	v_fmac_f16_e64 v144, 0xb94e, v131
	v_fma_f16 v145, v125, 0xbbc4, -v145
	v_add_f16_e64 v162, v176, v162
	v_add_f16_e64 v170, v171, v170
	v_fma_f16 v171, 0xb3a8, v119, v179
	v_add_f16_e64 v176, v180, v177
	v_fma_f16 v177, 0x3b15, v27, v181
	v_mul_f16_e64 v180, 0xbbf1, v135
	v_fma_f16 v185, 0x3bf1, v129, v182
	v_add_f16_e64 v170, v171, v170
	v_mul_f16_e64 v171, 0x388b, v114
	v_mul_f16_e64 v186, 0xbbc4, v136
	v_add_f16_e64 v142, v144, v142
	v_fmac_f16_e64 v146, 0x3a95, v132
	v_add_f16_e64 v144, v19, v145
	v_fma_f16 v184, 0xba95, v116, v171
	v_fma_f16 v145, v124, 0x3b15, -v148
	v_add_f16_e64 v176, v177, v176
	v_fma_f16 v177, 0x2fb7, v28, v180
	v_mul_f16_e64 v183, 0x33a8, v140
	v_add_f16_e64 v170, v184, v170
	v_add_f16_e64 v184, v122, v185
	v_fma_f16 v185, 0x33a8, v130, v186
	v_mul_f16_e64 v187, 0xb5ac, v137
	v_add_f16_e64 v142, v146, v142
	v_fmac_f16_e64 v149, 0xbb7b, v119
	v_add_f16_e64 v144, v145, v144
	v_fma_f16 v145, v27, 0xb9fd, -v151
	v_add_f16_e64 v176, v177, v176
	v_fma_f16 v177, 0xbbc4, v25, v183
	v_mul_f16_e64 v188, 0xbbf1, v138
	v_add_f16_e64 v184, v185, v184
	v_fma_f16 v185, 0xbb7b, v131, v187
	v_mul_f16_e64 v189, 0x3b15, v121
	v_add_f16_e64 v142, v149, v142
	v_add_f16_e64 v144, v145, v144
	v_fma_f16 v145, v28, 0x388b, -v153
	v_fma_f16 v149, v125, 0xb9fd, -v160
	v_add_f16_e64 v176, v177, v176
	v_mul_f16_e64 v177, 0x3a95, v117
	v_fma_f16 v191, 0x2fb7, v125, v188
	v_mul_f16_e64 v192, 0xb3a8, v133
	v_add_f16_e64 v184, v185, v184
	v_fma_f16 v185, 0xb770, v132, v189
	v_mul_f16_e64 v193, 0x388b, v141
	v_add_f16_e64 v144, v145, v144
	v_fma_f16 v145, v25, 0xb5ac, -v155
	v_add_f16_e64 v149, v19, v149
	v_fma_f16 v151, v124, 0x2fb7, -v164
	v_fma_f16 v190, 0x388b, v115, v177
	v_add_f16_e64 v191, v19, v191
	v_fma_f16 v194, 0xbbc4, v124, v192
	v_mul_f16_e64 v195, 0x3b7b, v134
	v_add_f16_e64 v184, v185, v184
	v_fma_f16 v185, 0x3a95, v119, v193
	v_add_f16_e64 v144, v145, v144
	v_fma_f16 v145, v115, 0x2fb7, -v150
	v_fmac_f16_e64 v168, 0xbb7b, v129
	v_add_f16_e64 v149, v151, v149
	v_fma_f16 v150, v27, 0x388b, -v167
	v_mul_f16_e64 v39, 0x3b15, v139
	v_add_f16_e64 v176, v190, v176
	v_add_f16_e64 v190, v194, v191
	v_fma_f16 v191, 0xb5ac, v27, v195
	v_mul_f16_e64 v194, 0x3770, v135
	v_add_f16_e64 v184, v185, v184
	v_mul_f16_e64 v185, 0xb9fd, v114
	v_mul_f16_e64 v139, 0x388b, v139
	v_add_f16_e64 v151, v122, v168
	v_fmac_f16_e64 v172, 0x394e, v130
	v_add_f16_e64 v144, v145, v144
	v_add_f16_e64 v145, v150, v149
	v_fma_f16 v149, v28, 0xbbc4, -v166
	v_mul_f16_e64 v37, 0x388b, v136
	v_add_f16_e64 v190, v191, v190
	v_fma_f16 v191, 0x3b15, v28, v194
	v_mul_f16_e64 v196, 0xba95, v140
	v_fma_f16 v197, 0x394e, v116, v185
	v_fma_f16 v198, 0x3a95, v129, v139
	v_mul_f16_e64 v136, 0xb5ac, v136
	v_add_f16_e64 v150, v172, v151
	v_add_f16_e64 v145, v149, v145
	v_fma_f16 v149, v25, 0x3b15, -v169
	v_fma_f16 v151, v125, 0xb5ac, -v174
	v_mul_f16_e64 v36, 0x2fb7, v137
	v_add_f16_e64 v190, v191, v190
	v_fma_f16 v191, 0x388b, v25, v196
	v_add_f16_e64 v184, v197, v184
	v_add_f16_e64 v197, v122, v198
	v_fma_f16 v198, 0x3b7b, v130, v136
	v_mul_f16_e64 v137, 0xbbc4, v137
	v_mul_f16_e64 v138, 0xba95, v138
	v_add_f16_e64 v145, v149, v145
	v_add_f16_e64 v149, v19, v151
	v_fma_f16 v151, v124, 0xb9fd, -v178
	v_mul_f16_e32 v33, 0xb5ac, v121
	v_add_f16_e64 v190, v191, v190
	v_mul_f16_e64 v191, 0xb94e, v117
	v_add_f16_e64 v197, v198, v197
	v_fma_f16 v198, 0x33a8, v131, v137
	v_mul_f16_e32 v121, 0xb9fd, v121
	v_fma_f16 v200, 0x388b, v125, v138
	v_mul_f16_e64 v133, 0xbb7b, v133
	v_add_f16_e64 v149, v151, v149
	v_fma_f16 v151, v27, 0x3b15, -v181
	v_mul_f16_e32 v29, 0x3b15, v125
	v_mul_f16_e64 v34, 0xb9fd, v141
	v_fma_f16 v199, 0xb9fd, v115, v191
	v_add_f16_e64 v197, v198, v197
	v_fma_f16 v198, 0xb94e, v132, v121
	v_mul_f16_e64 v141, 0x2fb7, v141
	v_add_f16_e64 v200, v19, v200
	v_fma_f16 v201, 0xb5ac, v124, v133
	v_mul_f16_e64 v134, 0xb3a8, v134
	v_fmac_f16_e64 v152, 0x3bf1, v116
	v_fmac_f16_e64 v182, 0xbbf1, v129
	v_add_f16_e64 v149, v151, v149
	v_fma_f16 v151, v28, 0x2fb7, -v180
	v_fmac_f16_e64 v154, 0xb94e, v129
	v_mul_f16_e32 v35, 0x388b, v124
	v_mul_f16_e32 v40, 0xbbc4, v114
	v_add_f16_e64 v197, v198, v197
	v_fma_f16 v198, 0xbbf1, v119, v141
	v_add_f16_e64 v190, v199, v190
	v_add_f16_e64 v199, v201, v200
	v_fma_f16 v200, 0xbbc4, v27, v134
	v_mul_f16_e32 v114, 0x3b15, v114
	v_add_f16_e64 v142, v152, v142
	v_fma_f16 v152, v115, 0xb5ac, -v163
	v_add_f16_e64 v153, v122, v182
	v_fmac_f16_e64 v186, 0xb3a8, v130
	v_add_f16_e64 v149, v151, v149
	v_fma_f16 v151, v125, 0x2fb7, -v188
	v_fmac_f16_e64 v139, 0xba95, v129
	v_fma_f16 v125, v125, 0x388b, -v138
	v_add_f16_e64 v39, v128, v39
	v_sub_f16_e32 v29, v29, v127
	v_add_f16_e64 v146, v122, v154
	v_fmac_f16_e64 v158, 0x3bf1, v130
	v_mul_f16_e32 v32, 0x2fb7, v27
	v_add_f16_e64 v197, v198, v197
	v_add_f16_e64 v198, v200, v199
	v_fma_f16 v200, 0xb770, v116, v114
	v_fmac_f16_e64 v157, 0xbb7b, v116
	v_fmac_f16_e64 v171, 0x3a95, v116
	v_add_f16_e64 v145, v152, v145
	v_add_f16_e64 v152, v186, v153
	v_fmac_f16_e64 v187, 0x3b7b, v131
	v_add_f16_e64 v129, v19, v151
	v_fma_f16 v151, v124, 0xbbc4, -v192
	v_add_f16_e64 v139, v122, v139
	v_fmac_f16_e64 v136, 0xbb7b, v130
	v_fmac_f16_e64 v185, 0xb94e, v116
	v_fmac_f16_e32 v114, 0x3770, v116
	v_add_f16_e32 v116, v19, v125
	v_fma_f16 v124, v124, 0xb5ac, -v133
	v_add_f16_e32 v39, v122, v39
	v_add_f16_e32 v37, v126, v37
	;; [unrolled: 1-line block ×3, first 2 shown]
	v_sub_f16_e32 v29, v35, v120
	v_mul_f16_e64 v135, 0x394e, v135
	v_add_f16_e64 v146, v158, v146
	v_fmac_f16_e64 v159, 0xba95, v131
	v_fmac_f16_e64 v173, 0x3770, v131
	v_mul_f16_e32 v30, 0xb5ac, v28
	v_add_f16_e64 v152, v187, v152
	v_fmac_f16_e64 v189, 0x3770, v132
	v_add_f16_e64 v129, v151, v129
	v_fma_f16 v151, v27, 0xb5ac, -v195
	v_add_f16_e64 v136, v136, v139
	v_fmac_f16_e64 v137, 0xb3a8, v131
	v_add_f16_e32 v35, v124, v116
	v_fma_f16 v27, v27, 0xbbc4, -v134
	v_add_f16_e32 v37, v37, v39
	v_add_f16_e32 v36, v123, v36
	;; [unrolled: 1-line block ×3, first 2 shown]
	v_sub_f16_e32 v29, v32, v118
	v_fma_f16 v199, 0xb9fd, v28, v135
	v_mul_f16_e64 v140, 0x3bf1, v140
	v_add_f16_e64 v146, v159, v146
	v_fmac_f16_e64 v161, 0x33a8, v132
	v_add_f16_e64 v150, v173, v150
	v_fmac_f16_e64 v175, 0xbbf1, v132
	v_mul_f16_e32 v31, 0xb9fd, v25
	v_add_f16_e64 v130, v189, v152
	v_fmac_f16_e64 v193, 0xba95, v119
	v_add_f16_e64 v129, v151, v129
	v_fma_f16 v139, v28, 0x3b15, -v194
	v_add_f16_e64 v136, v137, v136
	v_fmac_f16_e64 v121, 0x394e, v132
	v_add_f16_e32 v27, v27, v35
	v_fma_f16 v28, v28, 0xb9fd, -v135
	v_add_f16_e32 v32, v36, v37
	v_add_f16_e32 v24, v24, v33
	;; [unrolled: 1-line block ×3, first 2 shown]
	v_sub_f16_e32 v23, v30, v23
	v_add_f16_e64 v198, v199, v198
	v_fma_f16 v199, 0x2fb7, v25, v140
	v_mul_f16_e32 v117, 0x3770, v117
	v_add_f16_e64 v146, v161, v146
	v_fmac_f16_e64 v165, 0x3770, v119
	v_add_f16_e64 v150, v175, v150
	v_fmac_f16_e64 v179, 0x33a8, v119
	v_fma_f16 v153, v25, 0xbbc4, -v183
	v_mul_f16_e32 v38, 0xbbc4, v115
	v_add_f16_e64 v130, v193, v130
	v_add_f16_e64 v129, v139, v129
	v_fma_f16 v132, v25, 0x388b, -v196
	v_add_f16_e64 v121, v121, v136
	v_fmac_f16_e64 v141, 0x3bf1, v119
	v_add_f16_e32 v27, v28, v27
	v_fma_f16 v25, v25, 0x2fb7, -v140
	v_add_f16_e32 v24, v24, v32
	v_add_f16_e32 v26, v26, v34
	;; [unrolled: 1-line block ×3, first 2 shown]
	v_sub_f16_e32 v22, v31, v22
	v_add_f16_e64 v143, v200, v197
	v_add_f16_e64 v197, v199, v198
	v_fma_f16 v198, 0x3b15, v115, v117
	v_add_f16_e64 v146, v165, v146
	v_add_f16_e64 v150, v179, v150
	;; [unrolled: 1-line block ×3, first 2 shown]
	v_fma_f16 v131, v115, 0x388b, -v177
	v_add_f16_e64 v119, v185, v130
	v_add_f16_e64 v129, v132, v129
	v_fma_f16 v130, v115, 0xb9fd, -v191
	v_add_f16_e64 v121, v141, v121
	v_add_f16_e32 v23, v25, v27
	v_fma_f16 v25, v115, 0x3b15, -v117
	v_add_f16_e32 v24, v26, v24
	v_add_f16_e32 v26, v113, v40
	;; [unrolled: 1-line block ×3, first 2 shown]
	v_sub_f16_e32 v22, v38, v112
	v_add_f16_e64 v148, v198, v197
	v_add_f16_e64 v146, v157, v146
	;; [unrolled: 1-line block ×5, first 2 shown]
	v_add_f16_e32 v28, v114, v121
	v_add_f16_e32 v23, v25, v23
	v_add_f16_e32 v24, v26, v24
	v_add_f16_e32 v19, v22, v19
	v_lshl_add_u32 v22, v75, 2, v71
	v_perm_b32 v25, v111, v42, 0x5040100
	v_perm_b32 v26, v41, v21, 0x5040100
	v_pack_b32_f16 v29, v190, v184
	v_pack_b32_f16 v30, v148, v143
	;; [unrolled: 1-line block ×11, first 2 shown]
	ds_store_2addr_b32 v22, v26, v25 offset1:1
	ds_store_2addr_b32 v22, v30, v29 offset0:2 offset1:3
	ds_store_2addr_b32 v22, v32, v31 offset0:4 offset1:5
	;; [unrolled: 1-line block ×5, first 2 shown]
	ds_store_b32 v22, v19 offset:48
.LBB0_17:
	s_wait_alu 0xfffe
	s_or_b32 exec_lo, exec_lo, s1
	v_add_nc_u32_e32 v19, 0x400, v43
	global_wb scope:SCOPE_SE
	s_wait_dscnt 0x0
	s_barrier_signal -1
	s_barrier_wait -1
	global_inv scope:SCOPE_SE
	ds_load_2addr_b32 v[24:25], v43 offset1:39
	ds_load_2addr_b32 v[32:33], v43 offset0:182 offset1:221
	ds_load_2addr_b32 v[30:31], v19 offset0:108 offset1:147
	;; [unrolled: 1-line block ×5, first 2 shown]
	v_lshrrev_b32_e32 v35, 16, v20
	s_and_saveexec_b32 s1, s0
	s_cbranch_execz .LBB0_19
; %bb.18:
	v_add_nc_u32_e32 v19, 0x200, v43
	ds_load_2addr_b32 v[20:21], v19 offset0:28 offset1:210
	ds_load_b32 v42, v43 offset:2080
	s_wait_dscnt 0x1
	v_lshrrev_b32_e32 v35, 16, v20
	v_lshrrev_b32_e32 v41, 16, v21
	s_wait_dscnt 0x0
	v_lshrrev_b32_e32 v111, 16, v42
.LBB0_19:
	s_wait_alu 0xfffe
	s_or_b32 exec_lo, exec_lo, s1
	s_wait_dscnt 0x4
	v_lshrrev_b32_e32 v37, 16, v32
	s_wait_dscnt 0x3
	v_lshrrev_b32_e32 v38, 16, v30
	v_lshrrev_b32_e32 v40, 16, v33
	;; [unrolled: 1-line block ×3, first 2 shown]
	s_wait_dscnt 0x1
	v_lshrrev_b32_e32 v112, 16, v28
	v_mul_f16_e32 v115, v90, v37
	v_mul_f16_e32 v90, v90, v32
	;; [unrolled: 1-line block ×3, first 2 shown]
	s_wait_dscnt 0x0
	v_lshrrev_b32_e32 v113, 16, v26
	v_lshrrev_b32_e32 v116, 16, v29
	v_fmac_f16_e32 v115, v15, v32
	v_mul_f16_e32 v32, v89, v30
	v_fma_f16 v15, v15, v37, -v90
	v_mul_f16_e32 v37, v88, v40
	v_fmac_f16_e32 v118, v16, v30
	v_mul_f16_e32 v30, v88, v33
	v_fma_f16 v16, v16, v38, -v32
	v_mul_f16_e32 v32, v86, v74
	;; [unrolled: 4-line block ×4, first 2 shown]
	v_lshrrev_b32_e32 v117, 16, v27
	v_fmac_f16_e32 v30, v11, v28
	v_mul_f16_e32 v28, v85, v26
	v_fma_f16 v11, v11, v112, -v31
	v_mul_f16_e32 v31, v84, v116
	v_fmac_f16_e32 v33, v12, v26
	v_mul_f16_e32 v26, v84, v29
	v_fma_f16 v12, v12, v113, -v28
	v_mul_f16_e32 v28, v83, v117
	v_fmac_f16_e32 v31, v9, v29
	v_mul_f16_e32 v29, v83, v27
	v_lshrrev_b32_e32 v36, 16, v24
	v_fma_f16 v9, v9, v116, -v26
	v_add_f16_e32 v26, v115, v118
	v_fmac_f16_e32 v28, v10, v27
	v_fma_f16 v10, v10, v117, -v29
	v_add_f16_e32 v29, v15, v16
	v_add_f16_e32 v27, v24, v115
	v_fma_f16 v24, -0.5, v26, v24
	v_sub_f16_e32 v26, v15, v16
	v_add_f16_e32 v15, v36, v15
	v_fmac_f16_e32 v36, -0.5, v29
	v_sub_f16_e32 v29, v115, v118
	v_lshrrev_b32_e32 v39, 16, v25
	v_fmamk_f16 v38, v26, 0xbaee, v24
	v_add_f16_e32 v15, v15, v16
	v_add_f16_e32 v16, v37, v32
	v_fmac_f16_e32 v24, 0x3aee, v26
	v_fmamk_f16 v26, v29, 0x3aee, v36
	v_fmac_f16_e32 v36, 0xbaee, v29
	v_add_f16_e32 v29, v13, v14
	v_add_f16_e32 v40, v25, v37
	v_fmac_f16_e32 v25, -0.5, v16
	v_sub_f16_e32 v16, v13, v14
	v_add_f16_e32 v13, v39, v13
	v_fmac_f16_e32 v39, -0.5, v29
	v_sub_f16_e32 v29, v37, v32
	v_lshrrev_b32_e32 v75, 16, v22
	v_add_f16_e32 v40, v40, v32
	v_add_f16_e32 v13, v13, v14
	;; [unrolled: 1-line block ×3, first 2 shown]
	v_fmamk_f16 v32, v16, 0xbaee, v25
	v_fmac_f16_e32 v25, 0x3aee, v16
	v_fmamk_f16 v16, v29, 0x3aee, v39
	v_fmac_f16_e32 v39, 0xbaee, v29
	v_add_f16_e32 v29, v11, v12
	v_add_f16_e32 v37, v22, v30
	v_fma_f16 v14, -0.5, v14, v22
	v_sub_f16_e32 v22, v11, v12
	v_add_f16_e32 v11, v75, v11
	v_fmac_f16_e32 v75, -0.5, v29
	v_sub_f16_e32 v29, v30, v33
	v_lshrrev_b32_e32 v114, 16, v23
	v_fmamk_f16 v30, v22, 0xbaee, v14
	v_add_f16_e32 v11, v11, v12
	v_add_f16_e32 v12, v31, v28
	v_fmac_f16_e32 v14, 0x3aee, v22
	v_fmamk_f16 v22, v29, 0x3aee, v75
	v_fmac_f16_e32 v75, 0xbaee, v29
	v_add_f16_e32 v29, v9, v10
	v_add_f16_e32 v27, v27, v118
	;; [unrolled: 1-line block ×4, first 2 shown]
	v_fmac_f16_e32 v23, -0.5, v12
	v_sub_f16_e32 v12, v9, v10
	v_add_f16_e32 v9, v114, v9
	v_fmac_f16_e32 v114, -0.5, v29
	v_sub_f16_e32 v29, v31, v28
	v_pack_b32_f16 v24, v24, v36
	v_fmamk_f16 v31, v12, 0xbaee, v23
	v_fmac_f16_e32 v23, 0x3aee, v12
	v_pack_b32_f16 v12, v27, v15
	v_pack_b32_f16 v15, v38, v26
	;; [unrolled: 1-line block ×4, first 2 shown]
	v_add_f16_e32 v28, v33, v28
	v_add_f16_e32 v9, v9, v10
	v_fmamk_f16 v10, v29, 0x3aee, v114
	v_fmac_f16_e32 v114, 0xbaee, v29
	v_add_nc_u32_e32 v34, 0x30c, v43
	v_add_nc_u32_e32 v19, 0x3a8, v43
	global_wb scope:SCOPE_SE
	s_barrier_signal -1
	s_barrier_wait -1
	global_inv scope:SCOPE_SE
	ds_store_2addr_b32 v82, v12, v15 offset1:13
	ds_store_b32 v82, v24 offset:104
	ds_store_2addr_b32 v77, v13, v16 offset1:13
	v_pack_b32_f16 v12, v25, v39
	v_pack_b32_f16 v11, v37, v11
	v_pack_b32_f16 v13, v30, v22
	v_pack_b32_f16 v14, v14, v75
	v_pack_b32_f16 v9, v28, v9
	v_pack_b32_f16 v10, v31, v10
	v_pack_b32_f16 v15, v23, v114
	ds_store_b32 v77, v12 offset:104
	ds_store_2addr_b32 v78, v11, v13 offset1:13
	ds_store_b32 v78, v14 offset:104
	ds_store_2addr_b32 v79, v9, v10 offset1:13
	ds_store_b32 v79, v15 offset:104
	s_and_saveexec_b32 s1, s0
	s_cbranch_execz .LBB0_21
; %bb.20:
	v_mul_f16_e32 v9, v81, v21
	v_mul_f16_e32 v10, v80, v42
	;; [unrolled: 1-line block ×4, first 2 shown]
	v_mul_u32_u24_e32 v15, 39, v76
	v_fma_f16 v9, v7, v41, -v9
	v_fma_f16 v10, v8, v111, -v10
	v_fmac_f16_e32 v11, v7, v21
	v_fmac_f16_e32 v12, v8, v42
	s_delay_alu instid0(VALU_DEP_3) | instskip(SKIP_1) | instid1(VALU_DEP_3)
	v_add_f16_e32 v7, v10, v9
	v_sub_f16_e32 v14, v9, v10
	v_add_f16_e32 v8, v12, v11
	v_sub_f16_e32 v13, v11, v12
	v_add_f16_e32 v9, v9, v35
	v_fma_f16 v7, -0.5, v7, v35
	v_add_f16_e32 v11, v20, v11
	v_fma_f16 v8, -0.5, v8, v20
	s_delay_alu instid0(VALU_DEP_4) | instskip(NEXT) | instid1(VALU_DEP_4)
	v_add_f16_e32 v9, v10, v9
	v_fmamk_f16 v10, v13, 0xbaee, v7
	v_fmac_f16_e32 v7, 0x3aee, v13
	s_delay_alu instid0(VALU_DEP_4) | instskip(SKIP_3) | instid1(VALU_DEP_3)
	v_fmamk_f16 v16, v14, 0x3aee, v8
	v_add_nc_u32_e32 v13, v15, v73
	v_add_f16_e32 v11, v12, v11
	v_fmac_f16_e32 v8, 0xbaee, v14
	v_lshl_add_u32 v12, v13, 2, v71
	s_delay_alu instid0(VALU_DEP_3) | instskip(NEXT) | instid1(VALU_DEP_3)
	v_pack_b32_f16 v9, v11, v9
	v_pack_b32_f16 v7, v8, v7
	;; [unrolled: 1-line block ×3, first 2 shown]
	ds_store_2addr_b32 v12, v9, v7 offset1:13
	ds_store_b32 v12, v8 offset:104
.LBB0_21:
	s_wait_alu 0xfffe
	s_or_b32 exec_lo, exec_lo, s1
	global_wb scope:SCOPE_SE
	s_wait_dscnt 0x0
	s_barrier_signal -1
	s_barrier_wait -1
	global_inv scope:SCOPE_SE
	ds_load_2addr_b32 v[9:10], v43 offset1:39
	ds_load_2addr_b32 v[11:12], v43 offset0:78 offset1:117
	ds_load_2addr_b32 v[13:14], v43 offset0:156 offset1:195
	v_add_nc_u32_e32 v8, 0x200, v43
	v_add_nc_u32_e32 v7, 0x400, v43
	ds_load_2addr_b32 v[15:16], v8 offset0:106 offset1:145
	ds_load_2addr_b32 v[20:21], v7 offset0:56 offset1:95
	;; [unrolled: 1-line block ×4, first 2 shown]
	global_wb scope:SCOPE_SE
	s_wait_dscnt 0x0
	s_barrier_signal -1
	s_barrier_wait -1
	global_inv scope:SCOPE_SE
	s_mov_b32 s8, 0x1e01e01e
	s_mov_b32 s9, 0x3f5e01e0
	v_lshrrev_b32_e32 v26, 16, v9
	v_lshrrev_b32_e32 v27, 16, v11
	;; [unrolled: 1-line block ×3, first 2 shown]
	v_mul_f16_e32 v41, v103, v11
	v_mul_f16_e32 v71, v102, v13
	v_lshrrev_b32_e32 v32, 16, v15
	v_lshrrev_b32_e32 v33, 16, v20
	v_mul_f16_e32 v40, v103, v27
	v_mul_f16_e32 v42, v102, v28
	v_lshrrev_b32_e32 v30, 16, v12
	v_lshrrev_b32_e32 v35, 16, v22
	;; [unrolled: 1-line block ×3, first 2 shown]
	v_fmac_f16_e32 v40, v0, v11
	v_fma_f16 v11, v0, v27, -v41
	v_fmac_f16_e32 v42, v1, v13
	v_fma_f16 v13, v1, v28, -v71
	v_mul_f16_e32 v27, v101, v32
	v_mul_f16_e32 v28, v101, v15
	;; [unrolled: 1-line block ×4, first 2 shown]
	v_lshrrev_b32_e32 v31, 16, v14
	v_lshrrev_b32_e32 v37, 16, v16
	;; [unrolled: 1-line block ×3, first 2 shown]
	v_mul_f16_e32 v74, v99, v35
	v_fmac_f16_e32 v27, v2, v15
	v_fma_f16 v15, v2, v32, -v28
	v_fmac_f16_e32 v41, v3, v20
	v_fma_f16 v20, v3, v33, -v71
	v_mul_f16_e32 v28, v98, v36
	v_mul_f16_e32 v32, v98, v24
	;; [unrolled: 1-line block ×4, first 2 shown]
	v_lshrrev_b32_e32 v39, 16, v23
	v_lshrrev_b32_e32 v73, 16, v25
	v_fmac_f16_e32 v74, v17, v22
	v_mul_f16_e32 v22, v99, v22
	v_fmac_f16_e32 v28, v18, v24
	v_fma_f16 v24, v18, v36, -v32
	v_fmac_f16_e32 v33, v0, v12
	v_fma_f16 v0, v0, v30, -v71
	v_mul_f16_e32 v12, v102, v31
	v_mul_f16_e32 v30, v102, v14
	;; [unrolled: 1-line block ×4, first 2 shown]
	v_fma_f16 v22, v17, v35, -v22
	v_mul_f16_e32 v35, v101, v16
	v_fmac_f16_e32 v12, v1, v14
	v_fma_f16 v1, v1, v31, -v30
	v_fmac_f16_e32 v32, v2, v16
	v_fmac_f16_e32 v36, v3, v21
	v_mul_f16_e32 v14, v100, v21
	v_mul_f16_e32 v16, v99, v39
	;; [unrolled: 1-line block ×5, first 2 shown]
	v_fma_f16 v3, v3, v38, -v14
	v_fmac_f16_e32 v16, v17, v23
	v_fma_f16 v14, v17, v39, -v21
	v_fmac_f16_e32 v30, v18, v25
	v_fma_f16 v17, v18, v73, -v31
	v_add_f16_e32 v18, v40, v28
	v_add_f16_e32 v21, v11, v24
	v_sub_f16_e32 v11, v11, v24
	v_add_f16_e32 v24, v42, v74
	v_add_f16_e32 v25, v13, v22
	v_fma_f16 v2, v2, v37, -v35
	v_sub_f16_e32 v23, v40, v28
	v_sub_f16_e32 v28, v42, v74
	;; [unrolled: 1-line block ×3, first 2 shown]
	v_add_f16_e32 v22, v27, v41
	v_add_f16_e32 v31, v15, v20
	v_sub_f16_e32 v27, v41, v27
	v_sub_f16_e32 v15, v20, v15
	v_add_f16_e32 v20, v24, v18
	v_add_f16_e32 v35, v25, v21
	v_sub_f16_e32 v37, v24, v18
	v_sub_f16_e32 v38, v25, v21
	;; [unrolled: 1-line block ×6, first 2 shown]
	v_add_f16_e32 v39, v27, v28
	v_add_f16_e32 v40, v15, v13
	v_sub_f16_e32 v41, v27, v28
	v_sub_f16_e32 v42, v15, v13
	;; [unrolled: 1-line block ×3, first 2 shown]
	v_add_f16_e32 v20, v22, v20
	v_add_f16_e32 v22, v31, v35
	v_sub_f16_e32 v13, v13, v11
	v_sub_f16_e32 v27, v23, v27
	;; [unrolled: 1-line block ×3, first 2 shown]
	v_add_f16_e32 v23, v39, v23
	v_add_f16_e32 v11, v40, v11
	;; [unrolled: 1-line block ×4, first 2 shown]
	v_mul_f16_e32 v18, 0x3a52, v18
	v_mul_f16_e32 v21, 0x3a52, v21
	;; [unrolled: 1-line block ×8, first 2 shown]
	v_fmamk_f16 v20, v20, 0xbcab, v9
	v_fmamk_f16 v22, v22, 0xbcab, v26
	;; [unrolled: 1-line block ×4, first 2 shown]
	v_fma_f16 v31, v37, 0x39e0, -v31
	v_fma_f16 v35, v38, 0x39e0, -v35
	;; [unrolled: 1-line block ×4, first 2 shown]
	v_fmamk_f16 v37, v27, 0xb574, v39
	v_fmamk_f16 v38, v15, 0xb574, v40
	v_fma_f16 v13, v13, 0xbb00, -v40
	v_fma_f16 v27, v27, 0x3574, -v41
	;; [unrolled: 1-line block ×4, first 2 shown]
	v_add_f16_e32 v24, v24, v20
	v_add_f16_e32 v25, v25, v22
	v_add_f16_e32 v31, v31, v20
	v_add_f16_e32 v18, v18, v20
	v_add_f16_e32 v20, v21, v22
	v_fmac_f16_e32 v37, 0xb70e, v23
	v_fmac_f16_e32 v38, 0xb70e, v11
	;; [unrolled: 1-line block ×5, first 2 shown]
	v_add_f16_e32 v35, v35, v22
	v_fmac_f16_e32 v28, 0xb70e, v23
	v_add_f16_e32 v11, v38, v24
	v_sub_f16_e32 v21, v25, v37
	v_add_f16_e32 v22, v15, v18
	v_sub_f16_e32 v23, v20, v27
	v_sub_f16_e32 v39, v31, v13
	v_add_f16_e32 v13, v13, v31
	v_sub_f16_e32 v15, v18, v15
	v_add_f16_e32 v18, v27, v20
	;; [unrolled: 2-line block ×3, first 2 shown]
	v_add_f16_e32 v25, v33, v30
	v_add_f16_e32 v27, v0, v17
	v_sub_f16_e32 v0, v0, v17
	v_add_f16_e32 v17, v12, v16
	v_add_f16_e32 v31, v1, v14
	v_sub_f16_e32 v30, v33, v30
	v_sub_f16_e32 v12, v12, v16
	;; [unrolled: 1-line block ×3, first 2 shown]
	v_add_f16_e32 v14, v32, v36
	v_add_f16_e32 v16, v2, v3
	v_sub_f16_e32 v32, v36, v32
	v_sub_f16_e32 v2, v3, v2
	v_add_f16_e32 v3, v17, v25
	v_add_f16_e32 v33, v31, v27
	v_lshrrev_b32_e32 v29, 16, v10
	v_add_f16_e32 v40, v28, v35
	v_sub_f16_e32 v28, v35, v28
	v_sub_f16_e32 v35, v17, v25
	;; [unrolled: 1-line block ×7, first 2 shown]
	v_add_f16_e32 v37, v32, v12
	v_add_f16_e32 v38, v2, v1
	v_sub_f16_e32 v41, v32, v12
	v_sub_f16_e32 v42, v2, v1
	;; [unrolled: 1-line block ×3, first 2 shown]
	v_add_f16_e32 v3, v14, v3
	v_add_f16_e32 v14, v16, v33
	v_sub_f16_e32 v1, v1, v0
	v_sub_f16_e32 v32, v30, v32
	;; [unrolled: 1-line block ×3, first 2 shown]
	v_add_f16_e32 v16, v37, v30
	v_add_f16_e32 v0, v38, v0
	v_add_f16_e32 v10, v10, v3
	v_add_f16_e32 v29, v29, v14
	v_mul_f16_e32 v25, 0x3a52, v25
	v_mul_f16_e32 v27, 0x3a52, v27
	;; [unrolled: 1-line block ×8, first 2 shown]
	v_fmamk_f16 v3, v3, 0xbcab, v10
	v_fmamk_f16 v14, v14, 0xbcab, v29
	;; [unrolled: 1-line block ×4, first 2 shown]
	v_fma_f16 v30, v35, 0x39e0, -v30
	v_fma_f16 v33, v36, 0x39e0, -v33
	;; [unrolled: 1-line block ×4, first 2 shown]
	v_fmamk_f16 v35, v32, 0xb574, v37
	v_fmamk_f16 v36, v2, 0xb574, v38
	v_fma_f16 v32, v32, 0x3574, -v41
	v_fma_f16 v2, v2, 0x3574, -v42
	;; [unrolled: 1-line block ×4, first 2 shown]
	v_add_f16_e32 v17, v17, v3
	v_add_f16_e32 v31, v31, v14
	;; [unrolled: 1-line block ×6, first 2 shown]
	v_fmac_f16_e32 v35, 0xb70e, v16
	v_fmac_f16_e32 v36, 0xb70e, v0
	;; [unrolled: 1-line block ×6, first 2 shown]
	v_pack_b32_f16 v9, v9, v26
	v_pack_b32_f16 v11, v11, v21
	;; [unrolled: 1-line block ×4, first 2 shown]
	v_add_f16_e32 v0, v36, v17
	v_sub_f16_e32 v16, v31, v35
	v_add_f16_e32 v25, v2, v3
	v_sub_f16_e32 v27, v14, v32
	v_sub_f16_e32 v37, v30, v1
	v_add_f16_e32 v38, v12, v33
	v_add_f16_e32 v1, v1, v30
	v_sub_f16_e32 v12, v33, v12
	v_sub_f16_e32 v2, v3, v2
	v_add_f16_e32 v3, v32, v14
	v_sub_f16_e32 v14, v17, v36
	v_add_f16_e32 v17, v35, v31
	ds_store_2addr_b32 v43, v9, v11 offset1:39
	ds_store_2addr_b32 v43, v21, v22 offset0:78 offset1:117
	v_pack_b32_f16 v9, v13, v28
	v_pack_b32_f16 v11, v15, v18
	;; [unrolled: 1-line block ×10, first 2 shown]
	ds_store_2addr_b32 v43, v9, v11 offset0:156 offset1:195
	ds_store_2addr_b32 v8, v13, v10 offset0:106 offset1:145
	ds_store_2addr_b32 v7, v0, v15 offset0:56 offset1:95
	ds_store_2addr_b32 v7, v16, v1 offset0:134 offset1:173
	ds_store_2addr_b32 v7, v2, v3 offset0:212 offset1:251
	global_wb scope:SCOPE_SE
	s_wait_dscnt 0x0
	s_barrier_signal -1
	s_barrier_wait -1
	global_inv scope:SCOPE_SE
	ds_load_2addr_b32 v[0:1], v43 offset1:39
	ds_load_2addr_b32 v[2:3], v8 offset0:106 offset1:145
	ds_load_2addr_b32 v[9:10], v7 offset0:56 offset1:95
	;; [unrolled: 1-line block ×6, first 2 shown]
	s_wait_dscnt 0x6
	v_lshrrev_b32_e32 v20, 16, v0
	s_wait_dscnt 0x5
	v_lshrrev_b32_e32 v21, 16, v3
	;; [unrolled: 2-line block ×3, first 2 shown]
	v_mul_f16_e32 v33, v110, v3
	s_wait_dscnt 0x2
	v_lshrrev_b32_e32 v27, 16, v13
	v_lshrrev_b32_e32 v25, 16, v10
	v_mul_f16_e32 v32, v110, v21
	v_mul_f16_e32 v36, v109, v23
	v_lshrrev_b32_e32 v29, 16, v14
	v_mul_f16_e32 v38, v107, v27
	s_wait_dscnt 0x0
	v_lshrrev_b32_e32 v37, 16, v18
	v_fmac_f16_e32 v32, v95, v3
	v_fma_f16 v3, v95, v21, -v33
	v_mul_f16_e32 v21, v109, v9
	v_fmac_f16_e32 v36, v91, v9
	v_mul_f16_e32 v9, v108, v25
	v_mul_f16_e32 v33, v108, v10
	v_fmac_f16_e32 v38, v96, v13
	v_fma_f16 v21, v91, v23, -v21
	v_mul_f16_e32 v23, v107, v13
	v_mul_f16_e32 v13, v106, v29
	v_lshrrev_b32_e32 v31, 16, v17
	v_fmac_f16_e32 v9, v94, v10
	v_fma_f16 v10, v94, v25, -v33
	v_mul_f16_e32 v25, v106, v14
	v_fmac_f16_e32 v13, v92, v14
	v_mul_f16_e32 v14, v104, v37
	v_fma_f16 v23, v96, v27, -v23
	v_mul_f16_e32 v27, v105, v31
	v_mul_f16_e32 v33, v105, v17
	v_lshrrev_b32_e32 v22, 16, v1
	v_lshrrev_b32_e32 v24, 16, v11
	;; [unrolled: 1-line block ×3, first 2 shown]
	v_fma_f16 v25, v92, v29, -v25
	v_mul_f16_e32 v29, v104, v18
	v_lshrrev_b32_e32 v28, 16, v15
	v_fmac_f16_e32 v14, v93, v18
	v_sub_f16_e32 v18, v0, v32
	v_sub_f16_e32 v3, v20, v3
	v_lshrrev_b32_e32 v30, 16, v16
	v_fmac_f16_e32 v27, v97, v17
	v_fma_f16 v17, v97, v31, -v33
	v_sub_f16_e32 v31, v1, v36
	v_sub_f16_e32 v21, v22, v21
	;; [unrolled: 1-line block ×4, first 2 shown]
	v_lshrrev_b32_e32 v35, 16, v2
	v_fma_f16 v29, v93, v37, -v29
	v_sub_f16_e32 v32, v12, v38
	v_sub_f16_e32 v23, v26, v23
	;; [unrolled: 1-line block ×4, first 2 shown]
	v_fma_f16 v0, v0, 2.0, -v18
	v_fma_f16 v20, v20, 2.0, -v3
	v_sub_f16_e32 v27, v16, v27
	v_sub_f16_e32 v17, v30, v17
	v_fma_f16 v1, v1, 2.0, -v31
	v_fma_f16 v22, v22, 2.0, -v21
	;; [unrolled: 1-line block ×6, first 2 shown]
	v_sub_f16_e32 v14, v2, v14
	v_sub_f16_e32 v29, v35, v29
	v_fma_f16 v15, v15, 2.0, -v13
	v_fma_f16 v28, v28, 2.0, -v25
	v_pack_b32_f16 v0, v0, v20
	v_fma_f16 v16, v16, 2.0, -v27
	v_fma_f16 v30, v30, 2.0, -v17
	v_pack_b32_f16 v3, v18, v3
	v_pack_b32_f16 v18, v31, v21
	v_add_nc_u32_e32 v20, 0x400, v72
	v_pack_b32_f16 v1, v1, v22
	v_pack_b32_f16 v11, v11, v24
	v_fma_f16 v2, v2, 2.0, -v14
	v_fma_f16 v33, v35, 2.0, -v29
	v_pack_b32_f16 v9, v9, v10
	v_pack_b32_f16 v10, v12, v26
	;; [unrolled: 1-line block ×4, first 2 shown]
	ds_store_b32 v43, v0
	ds_store_2addr_b32 v20, v3, v18 offset0:17 offset1:56
	ds_store_2addr_b32 v72, v1, v11 offset0:39 offset1:78
	;; [unrolled: 1-line block ×4, first 2 shown]
	v_pack_b32_f16 v0, v13, v25
	v_pack_b32_f16 v1, v16, v30
	;; [unrolled: 1-line block ×5, first 2 shown]
	ds_store_b32 v72, v0 offset:1716
	ds_store_b32 v72, v1 offset:780
	;; [unrolled: 1-line block ×5, first 2 shown]
	global_wb scope:SCOPE_SE
	s_wait_dscnt 0x0
	s_barrier_signal -1
	s_barrier_wait -1
	global_inv scope:SCOPE_SE
	ds_load_2addr_b32 v[0:1], v43 offset1:42
	s_wait_dscnt 0x0
	v_lshrrev_b32_e32 v9, 16, v0
	s_delay_alu instid0(VALU_DEP_1) | instskip(NEXT) | instid1(VALU_DEP_1)
	v_mul_f16_e32 v2, v70, v9
	v_fmac_f16_e32 v2, v68, v0
	v_mul_f16_e32 v0, v70, v0
	s_delay_alu instid0(VALU_DEP_2) | instskip(NEXT) | instid1(VALU_DEP_2)
	v_cvt_f32_f16_e32 v2, v2
	v_fma_f16 v0, v68, v9, -v0
	s_delay_alu instid0(VALU_DEP_2) | instskip(NEXT) | instid1(VALU_DEP_2)
	v_cvt_f64_f32_e32 v[2:3], v2
	v_cvt_f32_f16_e32 v0, v0
	s_delay_alu instid0(VALU_DEP_1) | instskip(SKIP_1) | instid1(VALU_DEP_1)
	v_cvt_f64_f32_e32 v[9:10], v0
	v_lshrrev_b32_e32 v0, 16, v1
	v_mul_f16_e32 v11, v69, v0
	s_delay_alu instid0(VALU_DEP_1) | instskip(SKIP_1) | instid1(VALU_DEP_2)
	v_fmac_f16_e32 v11, v66, v1
	v_mul_f16_e32 v1, v69, v1
	v_cvt_f32_f16_e32 v11, v11
	s_delay_alu instid0(VALU_DEP_2) | instskip(NEXT) | instid1(VALU_DEP_2)
	v_fma_f16 v0, v66, v0, -v1
	v_cvt_f64_f32_e32 v[11:12], v11
	s_delay_alu instid0(VALU_DEP_2) | instskip(NEXT) | instid1(VALU_DEP_1)
	v_cvt_f32_f16_e32 v0, v0
	v_cvt_f64_f32_e32 v[0:1], v0
	s_wait_alu 0xfffe
	v_mul_f64_e32 v[2:3], s[8:9], v[2:3]
	v_mul_f64_e32 v[9:10], s[8:9], v[9:10]
	v_mul_f64_e32 v[11:12], s[8:9], v[11:12]
	s_delay_alu instid0(VALU_DEP_4) | instskip(NEXT) | instid1(VALU_DEP_4)
	v_mul_f64_e32 v[0:1], s[8:9], v[0:1]
	v_and_or_b32 v2, 0x1ff, v3, v2
	v_lshrrev_b32_e32 v13, 8, v3
	v_bfe_u32 v14, v3, 20, 11
	v_lshrrev_b32_e32 v24, 16, v3
	s_delay_alu instid0(VALU_DEP_4)
	v_cmp_ne_u32_e64 s0, 0, v2
	v_and_or_b32 v9, 0x1ff, v10, v9
	v_lshrrev_b32_e32 v16, 8, v10
	v_bfe_u32 v18, v10, 20, 11
	v_add_nc_u32_e32 v19, 0xfffffc10, v14
	s_wait_alu 0xf1ff
	v_cndmask_b32_e64 v2, 0, 1, s0
	v_cmp_ne_u32_e64 s0, 0, v9
	v_lshrrev_b32_e32 v27, 16, v10
	s_delay_alu instid0(VALU_DEP_3) | instskip(SKIP_3) | instid1(VALU_DEP_3)
	v_and_or_b32 v17, 0xffe, v13, v2
	v_sub_nc_u32_e32 v2, 0x3f1, v14
	s_wait_alu 0xf1ff
	v_cndmask_b32_e64 v9, 0, 1, s0
	v_or_b32_e32 v13, 0x1000, v17
	s_delay_alu instid0(VALU_DEP_3) | instskip(NEXT) | instid1(VALU_DEP_3)
	v_med3_i32 v2, v2, 0, 13
	v_and_or_b32 v9, 0xffe, v16, v9
	v_sub_nc_u32_e32 v16, 0x3f1, v18
	s_delay_alu instid0(VALU_DEP_3) | instskip(NEXT) | instid1(VALU_DEP_3)
	v_lshrrev_b32_e32 v15, v2, v13
	v_or_b32_e32 v20, 0x1000, v9
	s_delay_alu instid0(VALU_DEP_3) | instskip(SKIP_1) | instid1(VALU_DEP_4)
	v_med3_i32 v16, v16, 0, 13
	v_and_or_b32 v11, 0x1ff, v12, v11
	v_lshlrev_b32_e32 v2, v2, v15
	s_delay_alu instid0(VALU_DEP_3) | instskip(SKIP_2) | instid1(VALU_DEP_4)
	v_lshrrev_b32_e32 v22, v16, v20
	v_and_or_b32 v0, 0x1ff, v1, v0
	v_lshrrev_b32_e32 v10, 8, v1
	v_cmp_ne_u32_e64 s0, v2, v13
	v_mad_co_u64_u32 v[13:14], null, s6, v6, 0
	s_wait_alu 0xf1ff
	s_delay_alu instid0(VALU_DEP_2) | instskip(SKIP_1) | instid1(VALU_DEP_2)
	v_cndmask_b32_e64 v2, 0, 1, s0
	v_cmp_gt_i32_e64 s0, 1, v19
	v_or_b32_e32 v2, v15, v2
	v_lshl_or_b32 v15, v19, 12, v17
	s_wait_alu 0xf1ff
	s_delay_alu instid0(VALU_DEP_1) | instskip(NEXT) | instid1(VALU_DEP_1)
	v_cndmask_b32_e64 v21, v15, v2, s0
	v_dual_mov_b32 v2, v14 :: v_dual_and_b32 v23, 7, v21
	s_delay_alu instid0(VALU_DEP_1) | instskip(SKIP_2) | instid1(VALU_DEP_4)
	v_mad_co_u64_u32 v[14:15], null, s7, v6, v[2:3]
	v_lshlrev_b32_e32 v2, v16, v22
	v_lshrrev_b32_e32 v6, 2, v21
	v_cmp_lt_i32_e64 s0, 5, v23
	v_cmp_eq_u32_e64 s1, 3, v23
	ds_load_2addr_b32 v[15:16], v43 offset0:84 offset1:126
	v_cmp_ne_u32_e64 s2, v2, v20
	v_add_nc_u32_e32 v20, 0xfffffc10, v18
	v_lshlrev_b64_e32 v[13:14], 2, v[13:14]
	s_or_b32 s0, s1, s0
	s_mul_u64 s[6:7], s[4:5], 42
	s_wait_alu 0xfffe
	v_add_co_ci_u32_e64 v6, s0, 0, v6, s0
	v_cndmask_b32_e64 v2, 0, 1, s2
	v_cmp_ne_u32_e64 s0, 0, v17
	v_lshl_or_b32 v18, v20, 12, v9
	v_cmp_ne_u32_e64 s2, 0, v11
	s_lshl_b64 s[6:7], s[6:7], 2
	v_or_b32_e32 v2, v22, v2
	v_cndmask_b32_e64 v17, 0, 1, s0
	v_cmp_gt_i32_e64 s0, 1, v20
	v_cndmask_b32_e64 v11, 0, 1, s2
	s_delay_alu instid0(VALU_DEP_3) | instskip(SKIP_1) | instid1(VALU_DEP_3)
	v_lshl_or_b32 v17, v17, 9, 0x7c00
	s_wait_alu 0xf1ff
	v_cndmask_b32_e64 v2, v18, v2, s0
	v_cmp_gt_i32_e64 s0, 31, v19
	s_wait_dscnt 0x0
	v_lshrrev_b32_e32 v21, 16, v15
	s_delay_alu instid0(VALU_DEP_3)
	v_and_b32_e32 v18, 7, v2
	s_wait_alu 0xf1ff
	v_cndmask_b32_e64 v6, 0x7c00, v6, s0
	v_cmp_eq_u32_e64 s0, 0x40f, v19
	v_lshrrev_b32_e32 v2, 2, v2
	v_bfe_u32 v19, v12, 20, 11
	v_cmp_eq_u32_e64 s1, 3, v18
	s_wait_alu 0xf1ff
	v_cndmask_b32_e64 v6, v6, v17, s0
	v_mul_f16_e32 v17, v67, v21
	v_cmp_lt_i32_e64 s0, 5, v18
	v_lshrrev_b32_e32 v18, 8, v12
	v_sub_nc_u32_e32 v22, 0x3f1, v19
	v_and_or_b32 v6, 0x8000, v24, v6
	v_fmac_f16_e32 v17, v64, v15
	s_or_b32 s0, s1, s0
	v_and_or_b32 v11, 0xffe, v18, v11
	s_wait_alu 0xfffe
	v_add_co_ci_u32_e64 v2, s0, 0, v2, s0
	v_cvt_f32_f16_e32 v17, v17
	v_cmp_ne_u32_e64 s0, 0, v9
	v_or_b32_e32 v23, 0x1000, v11
	v_med3_i32 v22, v22, 0, 13
	v_mul_f16_e32 v15, v67, v15
	v_cvt_f64_f32_e32 v[17:18], v17
	s_wait_alu 0xf1ff
	v_cndmask_b32_e64 v9, 0, 1, s0
	v_cmp_gt_i32_e64 s0, 31, v20
	v_lshrrev_b32_e32 v25, v22, v23
	v_and_b32_e32 v6, 0xffff, v6
	v_lshrrev_b32_e32 v12, 16, v12
	v_lshl_or_b32 v9, v9, 9, 0x7c00
	s_wait_alu 0xf1ff
	v_cndmask_b32_e64 v2, 0x7c00, v2, s0
	v_cmp_eq_u32_e64 s0, 0x40f, v20
	s_wait_alu 0xf1ff
	s_delay_alu instid0(VALU_DEP_1)
	v_cndmask_b32_e64 v26, v2, v9, s0
	v_cmp_ne_u32_e64 s0, 0, v0
	v_lshlrev_b32_e32 v9, v22, v25
	v_bfe_u32 v22, v1, 20, 11
	v_mad_co_u64_u32 v[2:3], null, s4, v63, 0
	s_wait_alu 0xf1ff
	v_cndmask_b32_e64 v0, 0, 1, s0
	v_cmp_ne_u32_e64 s0, v9, v23
	s_delay_alu instid0(VALU_DEP_2)
	v_and_or_b32 v28, 0xffe, v10, v0
	v_fma_f16 v0, v64, v21, -v15
	v_sub_nc_u32_e32 v10, 0x3f1, v22
	s_wait_alu 0xf1ff
	v_cndmask_b32_e64 v9, 0, 1, s0
	v_add_nc_u32_e32 v15, 0xfffffc10, v19
	v_or_b32_e32 v21, 0x1000, v28
	v_cvt_f32_f16_e32 v19, v0
	v_mov_b32_e32 v0, v3
	v_med3_i32 v23, v10, 0, 13
	v_or_b32_e32 v3, v25, v9
	v_lshl_or_b32 v25, v15, 12, v11
	v_cvt_f64_f32_e32 v[9:10], v19
	v_cmp_gt_i32_e64 s0, 1, v15
	v_lshrrev_b32_e32 v29, v23, v21
	v_mul_f64_e32 v[17:18], s[8:9], v[17:18]
	v_mad_co_u64_u32 v[19:20], null, s5, v63, v[0:1]
	s_wait_alu 0xf1ff
	v_cndmask_b32_e64 v0, v25, v3, s0
	v_lshlrev_b32_e32 v3, v23, v29
	v_add_nc_u32_e32 v22, 0xfffffc10, v22
	v_and_or_b32 v20, 0x8000, v27, v26
	s_delay_alu instid0(VALU_DEP_4) | instskip(NEXT) | instid1(VALU_DEP_4)
	v_and_b32_e32 v23, 7, v0
	v_cmp_ne_u32_e64 s0, v3, v21
	v_lshrrev_b32_e32 v0, 2, v0
	v_mov_b32_e32 v3, v19
	v_cmp_gt_i32_e64 s2, 1, v22
	v_cmp_eq_u32_e64 s1, 3, v23
	s_wait_alu 0xf1ff
	v_cndmask_b32_e64 v21, 0, 1, s0
	v_cmp_lt_i32_e64 s0, 5, v23
	v_lshl_or_b32 v6, v20, 16, v6
	s_delay_alu instid0(VALU_DEP_3) | instskip(NEXT) | instid1(VALU_DEP_3)
	v_or_b32_e32 v19, v29, v21
	s_or_b32 s0, s1, s0
	v_lshl_or_b32 v21, v22, 12, v28
	s_wait_alu 0xfffe
	v_add_co_ci_u32_e64 v0, s0, 0, v0, s0
	v_cmp_ne_u32_e64 s0, 0, v11
	s_delay_alu instid0(VALU_DEP_3)
	v_cndmask_b32_e64 v19, v21, v19, s2
	v_cmp_eq_u32_e64 s2, 0x40f, v15
	v_lshrrev_b32_e32 v21, 16, v16
	s_wait_alu 0xf1ff
	v_cndmask_b32_e64 v11, 0, 1, s0
	v_cmp_gt_i32_e64 s0, 31, v15
	v_and_b32_e32 v20, 7, v19
	s_delay_alu instid0(VALU_DEP_3) | instskip(SKIP_1) | instid1(VALU_DEP_3)
	v_lshl_or_b32 v11, v11, 9, 0x7c00
	s_wait_alu 0xf1ff
	v_cndmask_b32_e64 v0, 0x7c00, v0, s0
	s_delay_alu instid0(VALU_DEP_3)
	v_cmp_lt_i32_e64 s0, 5, v20
	v_cmp_eq_u32_e64 s1, 3, v20
	v_mul_f64_e32 v[9:10], s[8:9], v[9:10]
	v_and_or_b32 v15, 0x1ff, v18, v17
	v_cndmask_b32_e64 v11, v0, v11, s2
	v_lshrrev_b32_e32 v0, 2, v19
	s_or_b32 s0, s1, s0
	v_mul_f16_e32 v17, v65, v21
	v_lshrrev_b32_e32 v19, 8, v18
	v_bfe_u32 v23, v18, 20, 11
	s_wait_alu 0xfffe
	v_add_co_ci_u32_e64 v0, s0, 0, v0, s0
	v_cmp_ne_u32_e64 s0, 0, v15
	v_fmac_f16_e32 v17, v61, v16
	v_sub_nc_u32_e32 v25, 0x3f1, v23
	v_and_or_b32 v11, 0x8000, v12, v11
	v_mul_f16_e32 v12, v65, v16
	s_wait_alu 0xf1ff
	v_cndmask_b32_e64 v15, 0, 1, s0
	v_cmp_ne_u32_e64 s0, 0, v28
	v_cvt_f32_f16_e32 v17, v17
	v_med3_i32 v25, v25, 0, 13
	v_fma_f16 v12, v61, v21, -v12
	v_and_or_b32 v15, 0xffe, v19, v15
	s_wait_alu 0xf1ff
	v_cndmask_b32_e64 v24, 0, 1, s0
	v_cmp_gt_i32_e64 s0, 31, v22
	v_cvt_f64_f32_e32 v[19:20], v17
	v_cvt_f32_f16_e32 v12, v12
	v_lshrrev_b32_e32 v18, 16, v18
	v_lshl_or_b32 v17, v24, 9, 0x7c00
	v_or_b32_e32 v24, 0x1000, v15
	s_wait_alu 0xf1ff
	v_cndmask_b32_e64 v0, 0x7c00, v0, s0
	v_cmp_eq_u32_e64 s0, 0x40f, v22
	v_lshrrev_b32_e32 v22, 16, v1
	v_lshrrev_b32_e32 v26, v25, v24
	s_wait_alu 0xf1ff
	s_delay_alu instid0(VALU_DEP_3) | instskip(SKIP_1) | instid1(VALU_DEP_3)
	v_cndmask_b32_e64 v17, v0, v17, s0
	v_add_co_u32 v27, s0, s10, v13
	v_lshlrev_b32_e32 v13, v25, v26
	s_wait_alu 0xf1ff
	v_add_co_ci_u32_e64 v28, s0, s11, v14, s0
	v_lshlrev_b64_e32 v[0:1], 2, v[2:3]
	v_and_or_b32 v2, 0x1ff, v10, v9
	v_cmp_ne_u32_e64 s0, v13, v24
	v_add_nc_u32_e32 v9, 0xfffffc10, v23
	v_lshrrev_b32_e32 v13, 8, v10
	v_bfe_u32 v16, v10, 20, 11
	v_and_or_b32 v17, 0x8000, v22, v17
	s_wait_alu 0xf1ff
	v_cndmask_b32_e64 v3, 0, 1, s0
	v_cmp_ne_u32_e64 s0, 0, v2
	v_lshl_or_b32 v14, v9, 12, v15
	v_and_b32_e32 v25, 0xffff, v11
	s_delay_alu instid0(VALU_DEP_4) | instskip(SKIP_4) | instid1(VALU_DEP_3)
	v_or_b32_e32 v3, v26, v3
	s_wait_alu 0xf1ff
	v_cndmask_b32_e64 v2, 0, 1, s0
	v_cmp_gt_i32_e64 s0, 1, v9
	v_lshl_or_b32 v25, v17, 16, v25
	v_and_or_b32 v21, 0xffe, v13, v2
	v_sub_nc_u32_e32 v2, 0x3f1, v16
	s_wait_alu 0xf1ff
	v_cndmask_b32_e64 v22, v14, v3, s0
	v_add_co_u32 v0, s0, v27, v0
	v_or_b32_e32 v23, 0x1000, v21
	v_med3_i32 v24, v2, 0, 13
	v_cvt_f64_f32_e32 v[2:3], v12
	v_mul_f64_e32 v[11:12], s[8:9], v[19:20]
	v_and_b32_e32 v19, 7, v22
	ds_load_2addr_b32 v[13:14], v43 offset0:168 offset1:210
	v_lshrrev_b32_e32 v20, v24, v23
	s_wait_alu 0xf1ff
	v_add_co_ci_u32_e64 v1, s0, v28, v1, s0
	v_cmp_lt_i32_e64 s0, 5, v19
	v_cmp_eq_u32_e64 s1, 3, v19
	v_lshrrev_b32_e32 v17, 2, v22
	v_lshlrev_b32_e32 v24, v24, v20
	v_add_nc_u32_e32 v22, 0xfffffc10, v16
	s_delay_alu instid0(VALU_DEP_4)
	s_or_b32 s0, s1, s0
	s_wait_alu 0xfffe
	v_add_co_ci_u32_e64 v16, s0, 0, v17, s0
	v_cmp_ne_u32_e64 s2, v24, v23
	v_cmp_ne_u32_e64 s0, 0, v15
	s_wait_alu 0xf1ff
	s_delay_alu instid0(VALU_DEP_2) | instskip(NEXT) | instid1(VALU_DEP_2)
	v_cndmask_b32_e64 v19, 0, 1, s2
	v_cndmask_b32_e64 v15, 0, 1, s0
	v_cmp_gt_i32_e64 s0, 31, v9
	s_delay_alu instid0(VALU_DEP_3) | instskip(SKIP_2) | instid1(VALU_DEP_3)
	v_or_b32_e32 v17, v20, v19
	v_lshl_or_b32 v19, v22, 12, v21
	s_wait_alu 0xf1ff
	v_cndmask_b32_e64 v16, 0x7c00, v16, s0
	s_wait_dscnt 0x0
	v_lshrrev_b32_e32 v20, 16, v13
	v_cmp_gt_i32_e64 s0, 1, v22
	v_lshl_or_b32 v15, v15, 9, 0x7c00
	s_wait_alu 0xf1ff
	s_delay_alu instid0(VALU_DEP_2)
	v_cndmask_b32_e64 v17, v19, v17, s0
	v_mul_f16_e32 v19, v62, v20
	v_mul_f64_e32 v[2:3], s[8:9], v[2:3]
	v_cmp_eq_u32_e64 s0, 0x40f, v9
	v_and_or_b32 v11, 0x1ff, v12, v11
	v_and_b32_e32 v9, 7, v17
	v_fmac_f16_e32 v19, v59, v13
	v_mul_f16_e32 v13, v62, v13
	s_wait_alu 0xf1ff
	v_cndmask_b32_e64 v23, v16, v15, s0
	v_cmp_ne_u32_e64 s2, 0, v11
	v_cmp_lt_i32_e64 s0, 5, v9
	v_cvt_f32_f16_e32 v15, v19
	v_cmp_eq_u32_e64 s1, 3, v9
	v_lshrrev_b32_e32 v9, 2, v17
	s_wait_alu 0xf1ff
	v_cndmask_b32_e64 v11, 0, 1, s2
	v_lshrrev_b32_e32 v17, 8, v12
	v_cvt_f64_f32_e32 v[15:16], v15
	v_bfe_u32 v19, v12, 20, 11
	s_or_b32 s0, s1, s0
	v_fma_f16 v13, v59, v20, -v13
	v_and_or_b32 v11, 0xffe, v17, v11
	s_wait_alu 0xfffe
	v_add_co_ci_u32_e64 v9, s0, 0, v9, s0
	v_sub_nc_u32_e32 v17, 0x3f1, v19
	v_cmp_ne_u32_e64 s0, 0, v21
	v_or_b32_e32 v24, 0x1000, v11
	v_cvt_f32_f16_e32 v13, v13
	v_and_or_b32 v20, 0x8000, v18, v23
	v_med3_i32 v17, v17, 0, 13
	s_wait_alu 0xf1ff
	v_cndmask_b32_e64 v21, 0, 1, s0
	v_cmp_gt_i32_e64 s0, 31, v22
	v_add_nc_u32_e32 v19, 0xfffffc10, v19
	v_and_b32_e32 v20, 0xffff, v20
	v_lshrrev_b32_e32 v26, v17, v24
	v_lshl_or_b32 v21, v21, 9, 0x7c00
	s_wait_alu 0xf1ff
	v_cndmask_b32_e64 v9, 0x7c00, v9, s0
	v_cmp_eq_u32_e64 s0, 0x40f, v22
	v_lshrrev_b32_e32 v22, 16, v10
	v_lshlrev_b32_e32 v17, v17, v26
	v_and_or_b32 v2, 0x1ff, v3, v2
	s_wait_alu 0xf1ff
	v_cndmask_b32_e64 v21, v9, v21, s0
	v_add_co_u32 v9, s0, v0, s6
	s_wait_alu 0xf1ff
	v_add_co_ci_u32_e64 v10, s0, s7, v1, s0
	v_cmp_ne_u32_e64 s0, v17, v24
	v_and_or_b32 v21, 0x8000, v22, v21
	v_cvt_f64_f32_e32 v[17:18], v13
	v_lshrrev_b32_e32 v13, 8, v3
	v_bfe_u32 v23, v3, 20, 11
	s_wait_alu 0xf1ff
	v_cndmask_b32_e64 v22, 0, 1, s0
	v_cmp_ne_u32_e64 s0, 0, v2
	v_lshl_or_b32 v24, v19, 12, v11
	v_mul_f64_e32 v[15:16], s[8:9], v[15:16]
	s_clause 0x1
	global_store_b32 v[0:1], v6, off
	global_store_b32 v[9:10], v25, off
	v_or_b32_e32 v22, v26, v22
	s_wait_alu 0xf1ff
	v_cndmask_b32_e64 v2, 0, 1, s0
	v_cmp_gt_i32_e64 s0, 1, v19
	v_lshl_or_b32 v6, v21, 16, v20
	v_lshrrev_b32_e32 v3, 16, v3
	s_delay_alu instid0(VALU_DEP_4)
	v_and_or_b32 v2, 0xffe, v13, v2
	v_sub_nc_u32_e32 v13, 0x3f1, v23
	s_wait_alu 0xf1ff
	v_cndmask_b32_e64 v22, v24, v22, s0
	v_add_co_u32 v0, s0, v9, s6
	v_or_b32_e32 v24, 0x1000, v2
	v_med3_i32 v13, v13, 0, 13
	s_delay_alu instid0(VALU_DEP_4)
	v_and_b32_e32 v20, 7, v22
	s_wait_alu 0xf1ff
	v_add_co_ci_u32_e64 v1, s0, s7, v10, s0
	v_lshrrev_b32_e32 v10, 2, v22
	v_lshrrev_b32_e32 v21, v13, v24
	v_cmp_lt_i32_e64 s0, 5, v20
	v_cmp_eq_u32_e64 s1, 3, v20
	v_add_nc_u32_e32 v20, 0xfffffc10, v23
	global_store_b32 v[0:1], v6, off
	v_lshlrev_b32_e32 v9, v13, v21
	v_lshrrev_b32_e32 v13, 16, v14
	s_or_b32 s0, s1, s0
	s_wait_alu 0xfffe
	v_add_co_ci_u32_e64 v23, s0, 0, v10, s0
	v_cmp_ne_u32_e64 s2, v9, v24
	v_cmp_gt_i32_e64 s0, 31, v19
	v_mul_f16_e32 v22, v60, v13
	v_lshl_or_b32 v24, v20, 12, v2
	s_wait_alu 0xf1ff
	v_cndmask_b32_e64 v9, 0, 1, s2
	v_cndmask_b32_e64 v23, 0x7c00, v23, s0
	v_cmp_gt_i32_e64 s0, 1, v20
	v_fmac_f16_e32 v22, v58, v14
	v_and_or_b32 v15, 0x1ff, v16, v15
	v_or_b32_e32 v21, v21, v9
	v_mul_f64_e32 v[9:10], s[8:9], v[17:18]
	v_bfe_u32 v25, v16, 20, 11
	v_cvt_f32_f16_e32 v17, v22
	v_cmp_eq_u32_e64 s2, 0x40f, v19
	s_wait_alu 0xf1ff
	v_cndmask_b32_e64 v21, v24, v21, s0
	v_cmp_ne_u32_e64 s0, 0, v11
	v_lshrrev_b32_e32 v24, 8, v16
	v_cvt_f64_f32_e32 v[17:18], v17
	v_mul_f16_e32 v14, v60, v14
	v_and_b32_e32 v22, 7, v21
	s_wait_alu 0xf1ff
	v_cndmask_b32_e64 v11, 0, 1, s0
	v_cmp_ne_u32_e64 s0, 0, v15
	v_lshrrev_b32_e32 v16, 16, v16
	v_cmp_eq_u32_e64 s1, 3, v22
	s_delay_alu instid0(VALU_DEP_4)
	v_lshl_or_b32 v11, v11, 9, 0x7c00
	s_wait_alu 0xf1ff
	v_cndmask_b32_e64 v15, 0, 1, s0
	v_cmp_lt_i32_e64 s0, 5, v22
	v_sub_nc_u32_e32 v22, 0x3f1, v25
	v_cndmask_b32_e64 v19, v23, v11, s2
	s_delay_alu instid0(VALU_DEP_4) | instskip(SKIP_1) | instid1(VALU_DEP_4)
	v_and_or_b32 v15, 0xffe, v24, v15
	v_lshrrev_b32_e32 v11, 2, v21
	v_med3_i32 v22, v22, 0, 13
	s_or_b32 s0, s1, s0
	v_lshrrev_b32_e32 v24, 16, v12
	v_or_b32_e32 v21, 0x1000, v15
	s_wait_alu 0xfffe
	v_add_co_ci_u32_e64 v11, s0, 0, v11, s0
	v_cmp_gt_i32_e64 s0, 31, v20
	v_and_or_b32 v19, 0x8000, v24, v19
	v_lshrrev_b32_e32 v23, v22, v21
	s_wait_alu 0xf1ff
	s_delay_alu instid0(VALU_DEP_3) | instskip(SKIP_1) | instid1(VALU_DEP_3)
	v_cndmask_b32_e64 v26, 0x7c00, v11, s0
	v_cmp_ne_u32_e64 s0, 0, v2
	v_lshlrev_b32_e32 v12, v22, v23
	v_fma_f16 v11, v58, v13, -v14
	v_and_or_b32 v9, 0x1ff, v10, v9
	v_lshrrev_b32_e32 v22, 8, v10
	s_wait_alu 0xf1ff
	v_cndmask_b32_e64 v2, 0, 1, s0
	v_cmp_ne_u32_e64 s0, v12, v21
	v_cvt_f32_f16_e32 v11, v11
	v_add_nc_u32_e32 v21, 0xfffffc10, v25
	v_bfe_u32 v25, v10, 20, 11
	v_lshl_or_b32 v2, v2, 9, 0x7c00
	s_wait_alu 0xf1ff
	v_cndmask_b32_e64 v13, 0, 1, s0
	v_cmp_ne_u32_e64 s0, 0, v9
	v_cvt_f64_f32_e32 v[11:12], v11
	v_and_b32_e32 v19, 0xffff, v19
	s_delay_alu instid0(VALU_DEP_4)
	v_or_b32_e32 v23, v23, v13
	s_wait_alu 0xf1ff
	v_cndmask_b32_e64 v9, 0, 1, s0
	v_mul_f64_e32 v[13:14], s[8:9], v[17:18]
	v_lshl_or_b32 v17, v21, 12, v15
	v_sub_nc_u32_e32 v18, 0x3f1, v25
	v_cmp_gt_i32_e64 s0, 1, v21
	v_and_or_b32 v9, 0xffe, v22, v9
	s_delay_alu instid0(VALU_DEP_3) | instskip(SKIP_1) | instid1(VALU_DEP_3)
	v_med3_i32 v27, v18, 0, 13
	s_wait_alu 0xf1ff
	v_cndmask_b32_e64 v22, v17, v23, s0
	s_delay_alu instid0(VALU_DEP_3)
	v_or_b32_e32 v23, 0x1000, v9
	ds_load_2addr_b32 v[17:18], v8 offset0:124 offset1:166
	v_cmp_eq_u32_e64 s0, 0x40f, v20
	v_and_b32_e32 v24, 7, v22
	v_lshrrev_b32_e32 v20, v27, v23
	s_wait_alu 0xf1ff
	s_delay_alu instid0(VALU_DEP_3) | instskip(NEXT) | instid1(VALU_DEP_3)
	v_cndmask_b32_e64 v2, v26, v2, s0
	v_cmp_lt_i32_e64 s0, 5, v24
	v_cmp_eq_u32_e64 s1, 3, v24
	s_delay_alu instid0(VALU_DEP_3) | instskip(SKIP_2) | instid1(VALU_DEP_4)
	v_and_or_b32 v6, 0x8000, v3, v2
	v_lshlrev_b32_e32 v2, v27, v20
	v_lshrrev_b32_e32 v3, 2, v22
	s_or_b32 s0, s1, s0
	v_add_nc_u32_e32 v22, 0xfffffc10, v25
	v_lshl_or_b32 v6, v6, 16, v19
	v_cmp_ne_u32_e64 s2, v2, v23
	s_wait_alu 0xfffe
	v_add_co_ci_u32_e64 v23, s0, 0, v3, s0
	s_wait_dscnt 0x0
	v_lshrrev_b32_e32 v24, 16, v17
	v_cmp_ne_u32_e64 s0, 0, v15
	s_wait_alu 0xf1ff
	v_cndmask_b32_e64 v2, 0, 1, s2
	v_lshl_or_b32 v25, v22, 12, v9
	v_cmp_eq_u32_e64 s2, 0x40f, v21
	v_lshrrev_b32_e32 v19, 16, v10
	v_cndmask_b32_e64 v15, 0, 1, s0
	v_or_b32_e32 v20, v20, v2
	v_mul_f64_e32 v[2:3], s[8:9], v[11:12]
	v_mul_f16_e32 v11, v57, v24
	v_cmp_gt_i32_e64 s0, 1, v22
	v_and_or_b32 v12, 0x1ff, v14, v13
	v_lshl_or_b32 v15, v15, 9, 0x7c00
	v_lshrrev_b32_e32 v26, 8, v14
	v_fmac_f16_e32 v11, v55, v17
	s_wait_alu 0xf1ff
	v_cndmask_b32_e64 v20, v25, v20, s0
	v_cmp_gt_i32_e64 s0, 31, v21
	v_bfe_u32 v27, v14, 20, 11
	v_lshrrev_b32_e32 v14, 16, v14
	v_cvt_f32_f16_e32 v11, v11
	s_wait_alu 0xf1ff
	v_cndmask_b32_e64 v13, 0x7c00, v23, s0
	v_and_b32_e32 v23, 7, v20
	v_cmp_ne_u32_e64 s0, 0, v12
	v_cvt_f64_f32_e32 v[11:12], v11
	s_delay_alu instid0(VALU_DEP_4) | instskip(NEXT) | instid1(VALU_DEP_4)
	v_cndmask_b32_e64 v13, v13, v15, s2
	v_cmp_eq_u32_e64 s1, 3, v23
	s_wait_alu 0xf1ff
	v_cndmask_b32_e64 v25, 0, 1, s0
	v_cmp_lt_i32_e64 s0, 5, v23
	v_lshrrev_b32_e32 v15, 2, v20
	v_and_or_b32 v13, 0x8000, v16, v13
	s_delay_alu instid0(VALU_DEP_4) | instskip(NEXT) | instid1(VALU_DEP_4)
	v_and_or_b32 v23, 0xffe, v26, v25
	s_or_b32 s0, s1, s0
	v_sub_nc_u32_e32 v25, 0x3f1, v27
	s_wait_alu 0xfffe
	v_add_co_ci_u32_e64 v15, s0, 0, v15, s0
	v_cmp_ne_u32_e64 s0, 0, v9
	v_or_b32_e32 v20, 0x1000, v23
	v_med3_i32 v21, v25, 0, 13
	v_and_b32_e32 v13, 0xffff, v13
	s_wait_alu 0xf1ff
	v_cndmask_b32_e64 v9, 0, 1, s0
	v_cmp_gt_i32_e64 s0, 31, v22
	v_lshrrev_b32_e32 v25, v21, v20
	v_and_or_b32 v2, 0x1ff, v3, v2
	s_delay_alu instid0(VALU_DEP_4)
	v_lshl_or_b32 v9, v9, 9, 0x7c00
	s_wait_alu 0xf1ff
	v_cndmask_b32_e64 v15, 0x7c00, v15, s0
	v_cmp_eq_u32_e64 s0, 0x40f, v22
	v_lshlrev_b32_e32 v16, v21, v25
	v_add_nc_u32_e32 v21, 0xfffffc10, v27
	s_wait_alu 0xf1ff
	s_delay_alu instid0(VALU_DEP_3)
	v_cndmask_b32_e64 v15, v15, v9, s0
	v_mul_f16_e32 v9, v57, v17
	v_cmp_ne_u32_e64 s0, v16, v20
	v_lshrrev_b32_e32 v16, 8, v3
	v_bfe_u32 v17, v3, 20, 11
	v_and_or_b32 v15, 0x8000, v19, v15
	v_fma_f16 v9, v55, v24, -v9
	s_wait_alu 0xf1ff
	v_cndmask_b32_e64 v10, 0, 1, s0
	v_cmp_ne_u32_e64 s0, 0, v2
	v_lshl_or_b32 v24, v21, 12, v23
	v_cvt_f32_f16_e32 v22, v9
	s_delay_alu instid0(VALU_DEP_4)
	v_or_b32_e32 v20, v25, v10
	s_wait_alu 0xf1ff
	v_cndmask_b32_e64 v2, 0, 1, s0
	v_mul_f64_e32 v[9:10], s[8:9], v[11:12]
	v_cmp_gt_i32_e64 s0, 1, v21
	v_cvt_f64_f32_e32 v[11:12], v22
	s_delay_alu instid0(VALU_DEP_4)
	v_and_or_b32 v2, 0xffe, v16, v2
	v_sub_nc_u32_e32 v16, 0x3f1, v17
	s_wait_alu 0xf1ff
	v_cndmask_b32_e64 v19, v24, v20, s0
	v_add_co_u32 v0, s0, v0, s6
	v_or_b32_e32 v22, 0x1000, v2
	v_med3_i32 v16, v16, 0, 13
	s_wait_alu 0xf1ff
	v_add_co_ci_u32_e64 v1, s0, s7, v1, s0
	v_lshl_or_b32 v24, v15, 16, v13
	v_and_b32_e32 v13, 7, v19
	v_lshrrev_b32_e32 v20, v16, v22
	v_add_co_u32 v15, s0, v0, s6
	v_add_nc_u32_e32 v17, 0xfffffc10, v17
	s_delay_alu instid0(VALU_DEP_4) | instskip(NEXT) | instid1(VALU_DEP_4)
	v_cmp_eq_u32_e64 s1, 3, v13
	v_lshlrev_b32_e32 v25, v16, v20
	s_wait_alu 0xf1ff
	v_add_co_ci_u32_e64 v16, s0, s7, v1, s0
	v_cmp_lt_i32_e64 s0, 5, v13
	v_lshrrev_b32_e32 v13, 2, v19
	v_cmp_ne_u32_e64 s2, v25, v22
	v_lshrrev_b32_e32 v22, 16, v18
	s_delay_alu instid0(VALU_DEP_4)
	s_or_b32 s0, s1, s0
	s_wait_alu 0xfffe
	v_add_co_ci_u32_e64 v13, s0, 0, v13, s0
	v_cndmask_b32_e64 v19, 0, 1, s2
	v_cmp_ne_u32_e64 s0, 0, v23
	v_mul_f16_e32 v25, v56, v22
	s_delay_alu instid0(VALU_DEP_3)
	v_or_b32_e32 v19, v20, v19
	v_lshl_or_b32 v20, v17, 12, v2
	s_wait_alu 0xf1ff
	v_cndmask_b32_e64 v23, 0, 1, s0
	v_cmp_gt_i32_e64 s0, 1, v17
	v_fmac_f16_e32 v25, v54, v18
	v_and_or_b32 v9, 0x1ff, v10, v9
	v_mul_f64_e32 v[11:12], s[8:9], v[11:12]
	v_lshl_or_b32 v23, v23, 9, 0x7c00
	s_wait_alu 0xf1ff
	v_cndmask_b32_e64 v26, v20, v19, s0
	v_cmp_gt_i32_e64 s0, 31, v21
	v_cvt_f32_f16_e32 v19, v25
	v_lshrrev_b32_e32 v27, 8, v10
	v_bfe_u32 v28, v10, 20, 11
	v_and_b32_e32 v25, 7, v26
	s_wait_alu 0xf1ff
	v_cndmask_b32_e64 v13, 0x7c00, v13, s0
	v_cmp_ne_u32_e64 s0, 0, v9
	v_cvt_f64_f32_e32 v[19:20], v19
	v_mul_f16_e32 v18, v56, v18
	v_cmp_eq_u32_e64 s1, 3, v25
	s_wait_alu 0xf1ff
	v_cndmask_b32_e64 v9, 0, 1, s0
	v_cmp_eq_u32_e64 s0, 0x40f, v21
	v_sub_nc_u32_e32 v21, 0x3f1, v28
	v_fma_f16 v18, v54, v22, -v18
	s_delay_alu instid0(VALU_DEP_4)
	v_and_or_b32 v9, 0xffe, v27, v9
	s_wait_alu 0xf1ff
	v_cndmask_b32_e64 v13, v13, v23, s0
	v_cmp_lt_i32_e64 s0, 5, v25
	v_lshrrev_b32_e32 v23, 2, v26
	v_med3_i32 v21, v21, 0, 13
	v_or_b32_e32 v25, 0x1000, v9
	v_cvt_f32_f16_e32 v18, v18
	s_or_b32 s0, s1, s0
	v_and_or_b32 v26, 0x8000, v14, v13
	s_wait_alu 0xfffe
	v_add_co_ci_u32_e64 v22, s0, 0, v23, s0
	v_cmp_ne_u32_e64 s0, 0, v2
	v_lshrrev_b32_e32 v23, v21, v25
	v_cvt_f64_f32_e32 v[13:14], v18
	s_wait_alu 0xf1ff
	s_delay_alu instid0(VALU_DEP_3) | instskip(SKIP_3) | instid1(VALU_DEP_4)
	v_cndmask_b32_e64 v2, 0, 1, s0
	v_cmp_gt_i32_e64 s0, 31, v17
	v_lshlrev_b32_e32 v18, v21, v23
	v_bfe_u32 v29, v12, 20, 11
	v_lshl_or_b32 v2, v2, 9, 0x7c00
	s_wait_alu 0xf1ff
	v_cndmask_b32_e64 v22, 0x7c00, v22, s0
	v_cmp_eq_u32_e64 s0, 0x40f, v17
	s_wait_alu 0xf1ff
	s_delay_alu instid0(VALU_DEP_1)
	v_cndmask_b32_e64 v21, v22, v2, s0
	v_and_or_b32 v2, 0x1ff, v12, v11
	v_cmp_ne_u32_e64 s0, v18, v25
	v_lshrrev_b32_e32 v11, 16, v3
	v_add_nc_u32_e32 v25, 0xfffffc10, v28
	v_lshrrev_b32_e32 v28, 8, v12
	ds_load_2addr_b32 v[17:18], v7 offset0:80 offset1:122
	s_wait_alu 0xf1ff
	v_cndmask_b32_e64 v22, 0, 1, s0
	v_cmp_ne_u32_e64 s0, 0, v2
	v_mul_f64_e32 v[2:3], s[8:9], v[19:20]
	v_and_or_b32 v11, 0x8000, v11, v21
	v_lshl_or_b32 v20, v25, 12, v9
	v_or_b32_e32 v19, v23, v22
	s_wait_alu 0xf1ff
	v_cndmask_b32_e64 v27, 0, 1, s0
	v_sub_nc_u32_e32 v22, 0x3f1, v29
	v_cmp_gt_i32_e64 s0, 1, v25
	v_and_b32_e32 v23, 0xffff, v26
	s_clause 0x1
	global_store_b32 v[0:1], v6, off
	global_store_b32 v[15:16], v24, off
	v_and_or_b32 v21, 0xffe, v28, v27
	v_med3_i32 v22, v22, 0, 13
	s_wait_alu 0xf1ff
	v_cndmask_b32_e64 v19, v20, v19, s0
	v_lshl_or_b32 v6, v11, 16, v23
	v_add_co_u32 v0, s0, v15, s6
	v_or_b32_e32 v20, 0x1000, v21
	s_delay_alu instid0(VALU_DEP_4)
	v_and_b32_e32 v11, 7, v19
	s_wait_dscnt 0x0
	v_lshrrev_b32_e32 v24, 16, v17
	s_wait_alu 0xf1ff
	v_add_co_ci_u32_e64 v1, s0, s7, v16, s0
	v_lshrrev_b32_e32 v23, v22, v20
	v_cmp_lt_i32_e64 s0, 5, v11
	v_cmp_eq_u32_e64 s1, 3, v11
	v_mul_f64_e32 v[13:14], s[8:9], v[13:14]
	v_lshrrev_b32_e32 v16, 2, v19
	v_lshlrev_b32_e32 v15, v22, v23
	v_mul_f16_e32 v11, v53, v24
	s_or_b32 s0, s1, s0
	v_add_nc_u32_e32 v19, 0xfffffc10, v29
	v_lshrrev_b32_e32 v12, 16, v12
	v_cmp_ne_u32_e64 s2, v15, v20
	s_wait_alu 0xfffe
	v_add_co_ci_u32_e64 v20, s0, 0, v16, s0
	v_fmac_f16_e32 v11, v52, v17
	v_cmp_ne_u32_e64 s0, 0, v9
	s_wait_alu 0xf1ff
	v_cndmask_b32_e64 v15, 0, 1, s2
	v_mul_f16_e32 v17, v53, v17
	global_store_b32 v[0:1], v6, off
	v_cvt_f32_f16_e32 v11, v11
	v_and_or_b32 v2, 0x1ff, v3, v2
	v_or_b32_e32 v22, v23, v15
	v_lshl_or_b32 v23, v19, 12, v21
	v_cndmask_b32_e64 v9, 0, 1, s0
	v_cmp_gt_i32_e64 s0, 1, v19
	v_cvt_f64_f32_e32 v[15:16], v11
	v_fma_f16 v17, v52, v24, -v17
	s_delay_alu instid0(VALU_DEP_4)
	v_lshl_or_b32 v9, v9, 9, 0x7c00
	s_wait_alu 0xf1ff
	v_cndmask_b32_e64 v11, v23, v22, s0
	v_cmp_ne_u32_e64 s0, 0, v2
	v_lshrrev_b32_e32 v22, 8, v3
	v_bfe_u32 v23, v3, 20, 11
	v_cvt_f32_f16_e32 v17, v17
	v_and_b32_e32 v26, 7, v11
	s_wait_alu 0xf1ff
	v_cndmask_b32_e64 v2, 0, 1, s0
	v_cmp_gt_i32_e64 s0, 31, v25
	v_lshrrev_b32_e32 v3, 16, v3
	v_cmp_eq_u32_e64 s1, 3, v26
	s_delay_alu instid0(VALU_DEP_4)
	v_and_or_b32 v2, 0xffe, v22, v2
	s_wait_alu 0xf1ff
	v_cndmask_b32_e64 v20, 0x7c00, v20, s0
	v_sub_nc_u32_e32 v22, 0x3f1, v23
	v_cmp_eq_u32_e64 s0, 0x40f, v25
	v_lshrrev_b32_e32 v25, 16, v10
	v_lshrrev_b32_e32 v10, 2, v11
	v_and_or_b32 v13, 0x1ff, v14, v13
	v_med3_i32 v22, v22, 0, 13
	s_wait_alu 0xf1ff
	v_cndmask_b32_e64 v20, v20, v9, s0
	v_or_b32_e32 v9, 0x1000, v2
	v_cmp_lt_i32_e64 s0, 5, v26
	v_bfe_u32 v24, v14, 20, 11
	v_add_nc_u32_e32 v23, 0xfffffc10, v23
	v_and_or_b32 v6, 0x8000, v25, v20
	v_lshrrev_b32_e32 v11, v22, v9
	s_or_b32 s0, s1, s0
	v_add_nc_u32_e32 v20, 0xfffffc10, v24
	s_wait_alu 0xfffe
	v_add_co_ci_u32_e64 v26, s0, 0, v10, s0
	v_lshlrev_b32_e32 v10, v22, v11
	v_cmp_ne_u32_e64 s0, 0, v13
	v_lshrrev_b32_e32 v22, 8, v14
	v_and_b32_e32 v6, 0xffff, v6
	s_wait_alu 0xf1ff
	s_delay_alu instid0(VALU_DEP_3) | instskip(SKIP_3) | instid1(VALU_DEP_4)
	v_cndmask_b32_e64 v13, 0, 1, s0
	v_cmp_ne_u32_e64 s0, v10, v9
	v_mul_f64_e32 v[9:10], s[8:9], v[15:16]
	v_cvt_f64_f32_e32 v[15:16], v17
	v_and_or_b32 v13, 0xffe, v22, v13
	s_wait_alu 0xf1ff
	v_cndmask_b32_e64 v27, 0, 1, s0
	v_cmp_ne_u32_e64 s0, 0, v21
	v_sub_nc_u32_e32 v22, 0x3f1, v24
	v_lshl_or_b32 v21, v23, 12, v2
	s_delay_alu instid0(VALU_DEP_4)
	v_or_b32_e32 v11, v11, v27
	s_wait_alu 0xf1ff
	v_cndmask_b32_e64 v17, 0, 1, s0
	v_cmp_gt_i32_e64 s0, 31, v19
	v_or_b32_e32 v27, 0x1000, v13
	v_med3_i32 v22, v22, 0, 13
	s_delay_alu instid0(VALU_DEP_4) | instskip(SKIP_4) | instid1(VALU_DEP_1)
	v_lshl_or_b32 v17, v17, 9, 0x7c00
	s_wait_alu 0xf1ff
	v_cndmask_b32_e64 v26, 0x7c00, v26, s0
	v_cmp_gt_i32_e64 s0, 1, v23
	s_wait_alu 0xf1ff
	v_cndmask_b32_e64 v11, v21, v11, s0
	v_lshrrev_b32_e32 v21, v22, v27
	v_cmp_eq_u32_e64 s0, 0x40f, v19
	s_delay_alu instid0(VALU_DEP_3) | instskip(NEXT) | instid1(VALU_DEP_3)
	v_and_b32_e32 v19, 7, v11
	v_lshlrev_b32_e32 v22, v22, v21
	s_wait_alu 0xf1ff
	s_delay_alu instid0(VALU_DEP_3) | instskip(SKIP_3) | instid1(VALU_DEP_4)
	v_cndmask_b32_e64 v17, v26, v17, s0
	v_lshrrev_b32_e32 v11, 2, v11
	v_cmp_lt_i32_e64 s0, 5, v19
	v_cmp_ne_u32_e64 s1, v22, v27
	v_and_or_b32 v17, 0x8000, v12, v17
	v_lshrrev_b32_e32 v22, 16, v18
	s_wait_alu 0xf1ff
	s_delay_alu instid0(VALU_DEP_3)
	v_cndmask_b32_e64 v12, 0, 1, s1
	v_cmp_eq_u32_e64 s1, 3, v19
	v_lshl_or_b32 v19, v20, 12, v13
	v_and_or_b32 v9, 0x1ff, v10, v9
	v_lshrrev_b32_e32 v24, 8, v10
	v_or_b32_e32 v12, v21, v12
	s_or_b32 s0, s1, s0
	v_bfe_u32 v25, v10, 20, 11
	s_wait_alu 0xfffe
	v_add_co_ci_u32_e64 v21, s0, 0, v11, s0
	v_cmp_ne_u32_e64 s0, 0, v2
	v_lshl_or_b32 v6, v17, 16, v6
	v_lshrrev_b32_e32 v10, 16, v10
	s_wait_alu 0xf1ff
	s_delay_alu instid0(VALU_DEP_3) | instskip(SKIP_1) | instid1(VALU_DEP_2)
	v_cndmask_b32_e64 v2, 0, 1, s0
	v_cmp_gt_i32_e64 s0, 1, v20
	v_lshl_or_b32 v2, v2, 9, 0x7c00
	s_wait_alu 0xf1ff
	s_delay_alu instid0(VALU_DEP_2) | instskip(SKIP_4) | instid1(VALU_DEP_3)
	v_cndmask_b32_e64 v19, v19, v12, s0
	v_cmp_gt_i32_e64 s0, 31, v23
	v_mul_f64_e32 v[11:12], s[8:9], v[15:16]
	v_mul_f16_e32 v16, v51, v22
	s_wait_alu 0xf1ff
	v_cndmask_b32_e64 v15, 0x7c00, v21, s0
	v_cmp_ne_u32_e64 s0, 0, v9
	s_delay_alu instid0(VALU_DEP_3)
	v_fmac_f16_e32 v16, v50, v18
	v_and_b32_e32 v21, 7, v19
	v_lshrrev_b32_e32 v19, 2, v19
	s_wait_alu 0xf1ff
	v_cndmask_b32_e64 v9, 0, 1, s0
	v_cmp_eq_u32_e64 s0, 0x40f, v23
	v_cmp_eq_u32_e64 s1, 3, v21
	v_sub_nc_u32_e32 v23, 0x3f1, v25
	s_delay_alu instid0(VALU_DEP_4)
	v_and_or_b32 v9, 0xffe, v24, v9
	s_wait_alu 0xf1ff
	v_cndmask_b32_e64 v2, v15, v2, s0
	v_cvt_f32_f16_e32 v15, v16
	v_cmp_lt_i32_e64 s0, 5, v21
	v_med3_i32 v23, v23, 0, 13
	v_or_b32_e32 v21, 0x1000, v9
	v_and_or_b32 v26, 0x8000, v3, v2
	v_cvt_f64_f32_e32 v[15:16], v15
	s_or_b32 s0, s1, s0
	v_mul_f16_e32 v2, v51, v18
	s_wait_alu 0xfffe
	v_add_co_ci_u32_e64 v19, s0, 0, v19, s0
	v_cmp_ne_u32_e64 s0, 0, v13
	v_lshrrev_b32_e32 v24, v23, v21
	v_fma_f16 v2, v50, v22, -v2
	s_wait_alu 0xf1ff
	s_delay_alu instid0(VALU_DEP_3) | instskip(SKIP_3) | instid1(VALU_DEP_4)
	v_cndmask_b32_e64 v13, 0, 1, s0
	v_cmp_gt_i32_e64 s0, 31, v20
	v_lshlrev_b32_e32 v3, v23, v24
	v_cvt_f32_f16_e32 v2, v2
	v_lshl_or_b32 v13, v13, 9, 0x7c00
	s_wait_alu 0xf1ff
	v_cndmask_b32_e64 v19, 0x7c00, v19, s0
	v_cmp_eq_u32_e64 s0, 0x40f, v20
	v_and_or_b32 v11, 0x1ff, v12, v11
	v_bfe_u32 v20, v12, 20, 11
	s_wait_alu 0xf1ff
	s_delay_alu instid0(VALU_DEP_3)
	v_cndmask_b32_e64 v18, v19, v13, s0
	v_cmp_ne_u32_e64 s0, v3, v21
	v_cvt_f64_f32_e32 v[2:3], v2
	v_lshrrev_b32_e32 v19, 16, v14
	v_add_nc_u32_e32 v21, 0xfffffc10, v25
	v_lshrrev_b32_e32 v14, 8, v12
	s_wait_alu 0xf1ff
	v_cndmask_b32_e64 v13, 0, 1, s0
	v_cmp_ne_u32_e64 s0, 0, v11
	v_and_or_b32 v17, 0x8000, v19, v18
	v_lshl_or_b32 v23, v21, 12, v9
	v_and_b32_e32 v18, 0xffff, v26
	v_or_b32_e32 v22, v24, v13
	s_wait_alu 0xf1ff
	v_cndmask_b32_e64 v11, 0, 1, s0
	v_sub_nc_u32_e32 v24, 0x3f1, v20
	v_cmp_gt_i32_e64 s0, 1, v21
	v_lshl_or_b32 v26, v17, 16, v18
	v_mul_f64_e32 v[15:16], s[8:9], v[15:16]
	v_and_or_b32 v11, 0xffe, v14, v11
	ds_load_2addr_b32 v[13:14], v7 offset0:164 offset1:206
	s_wait_alu 0xf1ff
	v_cndmask_b32_e64 v22, v23, v22, s0
	v_med3_i32 v24, v24, 0, 13
	v_add_co_u32 v0, s0, v0, s6
	v_or_b32_e32 v23, 0x1000, v11
	s_delay_alu instid0(VALU_DEP_4)
	v_and_b32_e32 v19, 7, v22
	s_wait_alu 0xf1ff
	v_add_co_ci_u32_e64 v1, s0, s7, v1, s0
	v_lshrrev_b32_e32 v18, 2, v22
	v_lshrrev_b32_e32 v25, v24, v23
	v_cmp_lt_i32_e64 s0, 5, v19
	v_cmp_eq_u32_e64 s1, 3, v19
	v_add_nc_u32_e32 v22, 0xfffffc10, v20
	s_delay_alu instid0(VALU_DEP_4) | instskip(NEXT) | instid1(VALU_DEP_3)
	v_lshlrev_b32_e32 v17, v24, v25
	s_or_b32 s0, s1, s0
	s_delay_alu instid0(VALU_DEP_2)
	v_lshl_or_b32 v20, v22, 12, v11
	s_wait_alu 0xfffe
	v_add_co_ci_u32_e64 v18, s0, 0, v18, s0
	s_wait_dscnt 0x0
	v_lshrrev_b32_e32 v24, 16, v13
	v_cmp_ne_u32_e64 s2, v17, v23
	v_cmp_ne_u32_e64 s0, 0, v9
	v_mul_f64_e32 v[2:3], s[8:9], v[2:3]
	s_delay_alu instid0(VALU_DEP_4)
	v_mul_f16_e32 v19, v49, v24
	s_wait_alu 0xf1ff
	v_cndmask_b32_e64 v17, 0, 1, s2
	v_cndmask_b32_e64 v9, 0, 1, s0
	v_cmp_gt_i32_e64 s0, 1, v22
	v_fmac_f16_e32 v19, v48, v13
	s_delay_alu instid0(VALU_DEP_4) | instskip(NEXT) | instid1(VALU_DEP_4)
	v_or_b32_e32 v17, v25, v17
	v_lshl_or_b32 v9, v9, 9, 0x7c00
	v_and_or_b32 v15, 0x1ff, v16, v15
	s_wait_alu 0xf1ff
	s_delay_alu instid0(VALU_DEP_3) | instskip(SKIP_3) | instid1(VALU_DEP_4)
	v_cndmask_b32_e64 v23, v20, v17, s0
	v_cvt_f32_f16_e32 v17, v19
	v_cmp_gt_i32_e64 s0, 31, v21
	v_cmp_ne_u32_e64 s1, 0, v15
	v_and_b32_e32 v27, 7, v23
	v_lshrrev_b32_e32 v23, 2, v23
	s_wait_alu 0xf1ff
	v_cndmask_b32_e64 v25, 0x7c00, v18, s0
	v_cvt_f64_f32_e32 v[17:18], v17
	v_add_co_u32 v19, s0, v0, s6
	s_wait_alu 0xf1ff
	v_add_co_ci_u32_e64 v20, s0, s7, v1, s0
	v_cmp_eq_u32_e64 s0, 0x40f, v21
	v_cndmask_b32_e64 v15, 0, 1, s1
	v_cmp_eq_u32_e64 s1, 3, v27
	v_lshrrev_b32_e32 v21, 8, v16
	global_store_b32 v[0:1], v6, off
	global_store_b32 v[19:20], v26, off
	s_wait_alu 0xf1ff
	v_cndmask_b32_e64 v9, v25, v9, s0
	v_cmp_lt_i32_e64 s0, 5, v27
	v_bfe_u32 v25, v16, 20, 11
	v_and_or_b32 v15, 0xffe, v21, v15
	v_lshrrev_b32_e32 v16, 16, v16
	v_and_or_b32 v28, 0x8000, v10, v9
	s_or_b32 s0, s1, s0
	v_sub_nc_u32_e32 v21, 0x3f1, v25
	s_wait_alu 0xfffe
	v_add_co_ci_u32_e64 v23, s0, 0, v23, s0
	v_cmp_ne_u32_e64 s0, 0, v11
	v_or_b32_e32 v27, 0x1000, v15
	v_med3_i32 v21, v21, 0, 13
	v_and_or_b32 v2, 0x1ff, v3, v2
	s_wait_alu 0xf1ff
	v_cndmask_b32_e64 v11, 0, 1, s0
	v_cmp_gt_i32_e64 s0, 31, v22
	v_lshrrev_b32_e32 v29, v21, v27
	s_delay_alu instid0(VALU_DEP_3) | instskip(SKIP_1) | instid1(VALU_DEP_3)
	v_lshl_or_b32 v11, v11, 9, 0x7c00
	s_wait_alu 0xf1ff
	v_cndmask_b32_e64 v23, 0x7c00, v23, s0
	v_cmp_eq_u32_e64 s0, 0x40f, v22
	s_wait_alu 0xf1ff
	s_delay_alu instid0(VALU_DEP_1)
	v_cndmask_b32_e64 v22, v23, v11, s0
	v_cmp_ne_u32_e64 s0, 0, v2
	v_lshrrev_b32_e32 v23, 16, v12
	v_lshlrev_b32_e32 v11, v21, v29
	v_mul_f16_e32 v12, v49, v13
	v_lshrrev_b32_e32 v13, 8, v3
	s_wait_alu 0xf1ff
	v_cndmask_b32_e64 v2, 0, 1, s0
	v_bfe_u32 v21, v3, 20, 11
	v_mul_f64_e32 v[9:10], s[8:9], v[17:18]
	v_fma_f16 v12, v48, v24, -v12
	v_cmp_ne_u32_e64 s0, v11, v27
	v_and_or_b32 v2, 0xffe, v13, v2
	v_sub_nc_u32_e32 v13, 0x3f1, v21
	v_add_nc_u32_e32 v24, 0xfffffc10, v25
	v_cvt_f32_f16_e32 v12, v12
	s_wait_alu 0xf1ff
	v_cndmask_b32_e64 v11, 0, 1, s0
	v_or_b32_e32 v25, 0x1000, v2
	v_med3_i32 v13, v13, 0, 13
	v_lshl_or_b32 v18, v24, 12, v15
	v_and_or_b32 v22, 0x8000, v23, v22
	v_or_b32_e32 v17, v29, v11
	v_cvt_f64_f32_e32 v[11:12], v12
	v_and_b32_e32 v23, 0xffff, v28
	v_cmp_gt_i32_e64 s0, 1, v24
	v_lshrrev_b32_e32 v28, v13, v25
	v_cmp_eq_u32_e64 s2, 0x40f, v24
	v_lshrrev_b32_e32 v3, 16, v3
	v_lshl_or_b32 v6, v22, 16, v23
	s_wait_alu 0xf1ff
	v_cndmask_b32_e64 v27, v18, v17, s0
	v_lshlrev_b32_e32 v1, v13, v28
	v_add_co_u32 v17, s0, v19, s6
	v_lshrrev_b32_e32 v13, 16, v14
	s_delay_alu instid0(VALU_DEP_4) | instskip(NEXT) | instid1(VALU_DEP_4)
	v_and_b32_e32 v0, 7, v27
	v_cmp_ne_u32_e64 s1, v1, v25
	s_wait_alu 0xf1ff
	v_add_co_ci_u32_e64 v18, s0, s7, v20, s0
	v_add_nc_u32_e32 v19, 0xfffffc10, v21
	v_cmp_lt_i32_e64 s0, 5, v0
	v_cndmask_b32_e64 v1, 0, 1, s1
	v_cmp_eq_u32_e64 s1, 3, v0
	v_lshrrev_b32_e32 v0, 2, v27
	v_mul_f16_e32 v20, v47, v13
	v_lshl_or_b32 v21, v19, 12, v2
	v_or_b32_e32 v1, v28, v1
	s_or_b32 s0, s1, s0
	v_and_or_b32 v9, 0x1ff, v10, v9
	s_wait_alu 0xfffe
	v_add_co_ci_u32_e64 v22, s0, 0, v0, s0
	v_fmac_f16_e32 v20, v45, v14
	v_cmp_gt_i32_e64 s0, 1, v19
	v_bfe_u32 v23, v10, 20, 11
	v_mul_f16_e32 v14, v47, v14
	s_delay_alu instid0(VALU_DEP_4)
	v_cvt_f32_f16_e32 v0, v20
	s_wait_alu 0xf1ff
	v_cndmask_b32_e64 v20, v21, v1, s0
	v_cmp_ne_u32_e64 s0, 0, v9
	v_lshrrev_b32_e32 v21, 8, v10
	v_fma_f16 v13, v45, v13, -v14
	v_cvt_f64_f32_e32 v[0:1], v0
	v_mul_f64_e32 v[11:12], s[8:9], v[11:12]
	s_wait_alu 0xf1ff
	v_cndmask_b32_e64 v9, 0, 1, s0
	v_cmp_ne_u32_e64 s0, 0, v15
	v_and_b32_e32 v25, 7, v20
	v_lshrrev_b32_e32 v20, 2, v20
	v_cvt_f32_f16_e32 v13, v13
	v_and_or_b32 v9, 0xffe, v21, v9
	s_wait_alu 0xf1ff
	v_cndmask_b32_e64 v15, 0, 1, s0
	v_cmp_gt_i32_e64 s0, 31, v24
	v_sub_nc_u32_e32 v21, 0x3f1, v23
	v_cmp_eq_u32_e64 s1, 3, v25
	v_or_b32_e32 v26, 0x1000, v9
	v_lshl_or_b32 v15, v15, 9, 0x7c00
	s_wait_alu 0xf1ff
	v_cndmask_b32_e64 v22, 0x7c00, v22, s0
	v_cmp_lt_i32_e64 s0, 5, v25
	v_med3_i32 v21, v21, 0, 13
	s_delay_alu instid0(VALU_DEP_3) | instskip(NEXT) | instid1(VALU_DEP_3)
	v_cndmask_b32_e64 v15, v22, v15, s2
	s_or_b32 s0, s1, s0
	s_delay_alu instid0(VALU_DEP_2)
	v_lshrrev_b32_e32 v22, v21, v26
	s_wait_alu 0xfffe
	v_add_co_ci_u32_e64 v20, s0, 0, v20, s0
	v_cmp_ne_u32_e64 s0, 0, v2
	v_and_or_b32 v15, 0x8000, v16, v15
	v_lshlrev_b32_e32 v21, v21, v22
	s_wait_alu 0xf1ff
	s_delay_alu instid0(VALU_DEP_3) | instskip(SKIP_2) | instid1(VALU_DEP_3)
	v_cndmask_b32_e64 v2, 0, 1, s0
	v_cmp_gt_i32_e64 s0, 31, v19
	v_and_b32_e32 v15, 0xffff, v15
	v_lshl_or_b32 v2, v2, 9, 0x7c00
	s_wait_alu 0xf1ff
	s_delay_alu instid0(VALU_DEP_3) | instskip(SKIP_4) | instid1(VALU_DEP_3)
	v_cndmask_b32_e64 v20, 0x7c00, v20, s0
	v_cmp_ne_u32_e64 s0, v21, v26
	v_mul_f64_e32 v[0:1], s[8:9], v[0:1]
	v_and_or_b32 v11, 0x1ff, v12, v11
	s_wait_alu 0xf1ff
	v_cndmask_b32_e64 v16, 0, 1, s0
	v_cmp_eq_u32_e64 s0, 0x40f, v19
	v_add_nc_u32_e32 v19, 0xfffffc10, v23
	s_delay_alu instid0(VALU_DEP_3) | instskip(SKIP_1) | instid1(VALU_DEP_3)
	v_or_b32_e32 v16, v22, v16
	s_wait_alu 0xf1ff
	v_cndmask_b32_e64 v2, v20, v2, s0
	ds_load_b32 v20, v43 offset:2016
	v_lshl_or_b32 v21, v19, 12, v9
	v_cmp_gt_i32_e64 s0, 1, v19
	v_and_or_b32 v22, 0x8000, v3, v2
	v_cvt_f64_f32_e32 v[2:3], v13
	s_wait_alu 0xf1ff
	s_delay_alu instid0(VALU_DEP_3)
	v_cndmask_b32_e64 v14, v21, v16, s0
	v_cmp_ne_u32_e64 s0, 0, v11
	v_lshrrev_b32_e32 v16, 8, v12
	v_bfe_u32 v21, v12, 20, 11
	v_lshl_or_b32 v22, v22, 16, v15
	v_and_b32_e32 v23, 7, v14
	s_wait_alu 0xf1ff
	v_cndmask_b32_e64 v11, 0, 1, s0
	v_lshrrev_b32_e32 v14, 2, v14
	v_sub_nc_u32_e32 v13, 0x3f1, v21
	v_add_nc_u32_e32 v21, 0xfffffc10, v21
	v_cmp_lt_i32_e64 s0, 5, v23
	v_and_or_b32 v11, 0xffe, v16, v11
	v_cmp_eq_u32_e64 s1, 3, v23
	s_wait_dscnt 0x0
	v_lshrrev_b32_e32 v16, 16, v20
	v_med3_i32 v13, v13, 0, 13
	v_or_b32_e32 v24, 0x1000, v11
	s_or_b32 s0, s1, s0
	s_delay_alu instid0(VALU_DEP_3)
	v_mul_f16_e32 v25, v46, v16
	s_wait_alu 0xfffe
	v_add_co_ci_u32_e64 v14, s0, 0, v14, s0
	v_lshrrev_b32_e32 v15, v13, v24
	v_cmp_ne_u32_e64 s0, 0, v9
	v_fmac_f16_e32 v25, v44, v20
	v_and_or_b32 v0, 0x1ff, v1, v0
	v_mul_f16_e32 v20, v46, v20
	v_lshlrev_b32_e32 v23, v13, v15
	s_wait_alu 0xf1ff
	v_cndmask_b32_e64 v9, 0, 1, s0
	v_cvt_f32_f16_e32 v13, v25
	v_cmp_gt_i32_e64 s0, 31, v19
	v_fma_f16 v16, v44, v16, -v20
	v_lshl_or_b32 v20, v21, 12, v11
	v_lshl_or_b32 v9, v9, 9, 0x7c00
	s_wait_alu 0xf1ff
	v_cndmask_b32_e64 v25, 0x7c00, v14, s0
	v_cvt_f64_f32_e32 v[13:14], v13
	v_cmp_ne_u32_e64 s0, v23, v24
	v_lshrrev_b32_e32 v24, 8, v1
	v_mul_f64_e32 v[2:3], s[8:9], v[2:3]
	v_cvt_f32_f16_e32 v16, v16
	s_wait_alu 0xf1ff
	v_cndmask_b32_e64 v23, 0, 1, s0
	v_cmp_ne_u32_e64 s0, 0, v0
	s_delay_alu instid0(VALU_DEP_2) | instskip(SKIP_1) | instid1(VALU_DEP_2)
	v_or_b32_e32 v15, v15, v23
	s_wait_alu 0xf1ff
	v_cndmask_b32_e64 v0, 0, 1, s0
	v_bfe_u32 v23, v1, 20, 11
	v_cmp_gt_i32_e64 s0, 1, v21
	v_lshrrev_b32_e32 v1, 16, v1
	s_delay_alu instid0(VALU_DEP_4) | instskip(NEXT) | instid1(VALU_DEP_4)
	v_and_or_b32 v0, 0xffe, v24, v0
	v_sub_nc_u32_e32 v24, 0x3f1, v23
	s_wait_alu 0xf1ff
	v_cndmask_b32_e64 v20, v20, v15, s0
	v_cmp_eq_u32_e64 s0, 0x40f, v19
	v_cvt_f64_f32_e32 v[15:16], v16
	v_or_b32_e32 v26, 0x1000, v0
	v_med3_i32 v24, v24, 0, 13
	v_and_b32_e32 v27, 7, v20
	s_wait_alu 0xf1ff
	v_cndmask_b32_e64 v19, v25, v9, s0
	v_add_co_u32 v9, s0, v17, s6
	v_lshrrev_b32_e32 v28, v24, v26
	v_lshrrev_b32_e32 v25, 16, v10
	s_wait_alu 0xf1ff
	v_add_co_ci_u32_e64 v10, s0, s7, v18, s0
	v_cmp_lt_i32_e64 s0, 5, v27
	v_cmp_eq_u32_e64 s1, 3, v27
	v_lshrrev_b32_e32 v20, 2, v20
	v_lshlrev_b32_e32 v24, v24, v28
	v_add_nc_u32_e32 v23, 0xfffffc10, v23
	v_and_or_b32 v19, 0x8000, v25, v19
	s_or_b32 s0, s1, s0
	v_mul_f64_e32 v[13:14], s[8:9], v[13:14]
	s_wait_alu 0xfffe
	v_add_co_ci_u32_e64 v20, s0, 0, v20, s0
	v_cmp_ne_u32_e64 s2, v24, v26
	v_cmp_ne_u32_e64 s0, 0, v11
	v_lshl_or_b32 v25, v23, 12, v0
	v_and_or_b32 v2, 0x1ff, v3, v2
	v_and_b32_e32 v19, 0xffff, v19
	s_wait_alu 0xf1ff
	v_cndmask_b32_e64 v24, 0, 1, s2
	v_cndmask_b32_e64 v11, 0, 1, s0
	v_cmp_gt_i32_e64 s0, 31, v21
	v_lshrrev_b32_e32 v26, 8, v3
	s_delay_alu instid0(VALU_DEP_4) | instskip(NEXT) | instid1(VALU_DEP_4)
	v_or_b32_e32 v24, v28, v24
	v_lshl_or_b32 v11, v11, 9, 0x7c00
	s_wait_alu 0xf1ff
	v_cndmask_b32_e64 v20, 0x7c00, v20, s0
	v_cmp_gt_i32_e64 s0, 1, v23
	s_wait_alu 0xf1ff
	s_delay_alu instid0(VALU_DEP_1) | instskip(SKIP_2) | instid1(VALU_DEP_3)
	v_cndmask_b32_e64 v24, v25, v24, s0
	v_cmp_eq_u32_e64 s0, 0x40f, v21
	v_lshrrev_b32_e32 v21, 16, v12
	v_and_b32_e32 v25, 7, v24
	s_wait_alu 0xf1ff
	s_delay_alu instid0(VALU_DEP_3)
	v_cndmask_b32_e64 v20, v20, v11, s0
	v_cmp_ne_u32_e64 s0, 0, v2
	v_mul_f64_e32 v[11:12], s[8:9], v[15:16]
	v_bfe_u32 v15, v3, 20, 11
	v_cmp_eq_u32_e64 s1, 3, v25
	v_and_or_b32 v16, 0x8000, v21, v20
	s_wait_alu 0xf1ff
	v_cndmask_b32_e64 v2, 0, 1, s0
	v_cmp_lt_i32_e64 s0, 5, v25
	v_sub_nc_u32_e32 v20, 0x3f1, v15
	v_add_nc_u32_e32 v15, 0xfffffc10, v15
	v_lshl_or_b32 v16, v16, 16, v19
	v_lshrrev_b32_e32 v19, 2, v24
	v_and_or_b32 v2, 0xffe, v26, v2
	s_or_b32 s0, s1, s0
	v_med3_i32 v20, v20, 0, 13
	v_and_or_b32 v13, 0x1ff, v14, v13
	s_wait_alu 0xfffe
	v_add_co_ci_u32_e64 v19, s0, 0, v19, s0
	v_or_b32_e32 v21, 0x1000, v2
	v_cmp_ne_u32_e64 s0, 0, v0
	v_lshrrev_b32_e32 v25, 8, v14
	v_bfe_u32 v26, v14, 20, 11
	v_lshrrev_b32_e32 v3, 16, v3
	v_lshrrev_b32_e32 v24, v20, v21
	s_wait_alu 0xf1ff
	v_cndmask_b32_e64 v0, 0, 1, s0
	v_cmp_gt_i32_e64 s0, 31, v23
	v_lshrrev_b32_e32 v14, 16, v14
	v_lshlrev_b32_e32 v20, v20, v24
	s_delay_alu instid0(VALU_DEP_4) | instskip(SKIP_4) | instid1(VALU_DEP_1)
	v_lshl_or_b32 v0, v0, 9, 0x7c00
	s_wait_alu 0xf1ff
	v_cndmask_b32_e64 v19, 0x7c00, v19, s0
	v_cmp_ne_u32_e64 s0, 0, v13
	s_wait_alu 0xf1ff
	v_cndmask_b32_e64 v13, 0, 1, s0
	v_cmp_ne_u32_e64 s0, v20, v21
	v_sub_nc_u32_e32 v21, 0x3f1, v26
	v_and_or_b32 v11, 0x1ff, v12, v11
	s_delay_alu instid0(VALU_DEP_4)
	v_and_or_b32 v13, 0xffe, v25, v13
	s_wait_alu 0xf1ff
	v_cndmask_b32_e64 v20, 0, 1, s0
	v_cmp_eq_u32_e64 s0, 0x40f, v23
	v_med3_i32 v21, v21, 0, 13
	v_bfe_u32 v25, v12, 20, 11
	v_or_b32_e32 v23, 0x1000, v13
	s_wait_alu 0xf1ff
	v_cndmask_b32_e64 v0, v19, v0, s0
	v_or_b32_e32 v19, v24, v20
	v_lshl_or_b32 v20, v15, 12, v2
	v_cmp_gt_i32_e64 s0, 1, v15
	v_lshrrev_b32_e32 v24, 8, v12
	v_and_or_b32 v0, 0x8000, v1, v0
	s_wait_alu 0xf1ff
	s_delay_alu instid0(VALU_DEP_3) | instskip(SKIP_3) | instid1(VALU_DEP_4)
	v_cndmask_b32_e64 v19, v20, v19, s0
	v_lshrrev_b32_e32 v20, v21, v23
	v_cmp_ne_u32_e64 s0, 0, v11
	v_and_b32_e32 v0, 0xffff, v0
	v_and_b32_e32 v27, 7, v19
	s_delay_alu instid0(VALU_DEP_4)
	v_lshlrev_b32_e32 v21, v21, v20
	s_wait_alu 0xf1ff
	v_cndmask_b32_e64 v11, 0, 1, s0
	v_lshrrev_b32_e32 v19, 2, v19
	v_cmp_lt_i32_e64 s0, 5, v27
	v_cmp_ne_u32_e64 s1, v21, v23
	s_delay_alu instid0(VALU_DEP_4)
	v_and_or_b32 v1, 0xffe, v24, v11
	v_sub_nc_u32_e32 v11, 0x3f1, v25
	v_add_nc_u32_e32 v24, 0xfffffc10, v26
	s_wait_alu 0xf1ff
	v_cndmask_b32_e64 v21, 0, 1, s1
	v_cmp_eq_u32_e64 s1, 3, v27
	v_or_b32_e32 v23, 0x1000, v1
	v_med3_i32 v11, v11, 0, 13
	v_lshl_or_b32 v26, v24, 12, v13
	v_or_b32_e32 v20, v20, v21
	s_or_b32 s0, s1, s0
	s_wait_alu 0xfffe
	v_add_co_ci_u32_e64 v19, s0, 0, v19, s0
	v_lshrrev_b32_e32 v21, v11, v23
	v_cmp_gt_i32_e64 s0, 1, v24
	s_delay_alu instid0(VALU_DEP_2) | instskip(SKIP_1) | instid1(VALU_DEP_2)
	v_lshlrev_b32_e32 v11, v11, v21
	s_wait_alu 0xf1ff
	v_cndmask_b32_e64 v20, v26, v20, s0
	v_cmp_ne_u32_e64 s0, 0, v2
	s_wait_alu 0xf1ff
	s_delay_alu instid0(VALU_DEP_1) | instskip(SKIP_3) | instid1(VALU_DEP_4)
	v_cndmask_b32_e64 v2, 0, 1, s0
	v_cmp_ne_u32_e64 s0, v11, v23
	v_add_nc_u32_e32 v23, 0xfffffc10, v25
	v_and_b32_e32 v25, 7, v20
	v_lshl_or_b32 v2, v2, 9, 0x7c00
	s_wait_alu 0xf1ff
	v_cndmask_b32_e64 v11, 0, 1, s0
	v_cmp_gt_i32_e64 s0, 31, v15
	v_cmp_gt_i32_e64 s2, 1, v23
	v_cmp_eq_u32_e64 s1, 3, v25
	s_delay_alu instid0(VALU_DEP_4) | instskip(SKIP_4) | instid1(VALU_DEP_3)
	v_or_b32_e32 v11, v21, v11
	v_lshl_or_b32 v21, v23, 12, v1
	s_wait_alu 0xf1ff
	v_cndmask_b32_e64 v19, 0x7c00, v19, s0
	v_cmp_lt_i32_e64 s0, 5, v25
	v_cndmask_b32_e64 v11, v21, v11, s2
	v_cmp_eq_u32_e64 s2, 0x40f, v15
	v_lshrrev_b32_e32 v15, 2, v20
	s_delay_alu instid0(VALU_DEP_4) | instskip(NEXT) | instid1(VALU_DEP_2)
	s_or_b32 s0, s1, s0
	v_cndmask_b32_e64 v2, v19, v2, s2
	s_wait_alu 0xfffe
	s_delay_alu instid0(VALU_DEP_2) | instskip(SKIP_4) | instid1(VALU_DEP_4)
	v_add_co_ci_u32_e64 v15, s0, 0, v15, s0
	v_and_b32_e32 v19, 7, v11
	v_cmp_ne_u32_e64 s0, 0, v13
	v_lshrrev_b32_e32 v11, 2, v11
	v_cmp_gt_i32_e64 s2, 31, v24
	v_cmp_eq_u32_e64 s1, 3, v19
	s_wait_alu 0xf1ff
	v_cndmask_b32_e64 v13, 0, 1, s0
	v_cmp_lt_i32_e64 s0, 5, v19
	v_cndmask_b32_e64 v15, 0x7c00, v15, s2
	s_delay_alu instid0(VALU_DEP_3) | instskip(NEXT) | instid1(VALU_DEP_3)
	v_lshl_or_b32 v13, v13, 9, 0x7c00
	s_or_b32 s0, s1, s0
	s_wait_alu 0xfffe
	v_add_co_ci_u32_e64 v11, s0, 0, v11, s0
	v_cmp_ne_u32_e64 s0, 0, v1
	s_wait_alu 0xf1ff
	s_delay_alu instid0(VALU_DEP_1) | instskip(SKIP_1) | instid1(VALU_DEP_2)
	v_cndmask_b32_e64 v1, 0, 1, s0
	v_cmp_eq_u32_e64 s0, 0x40f, v24
	v_lshl_or_b32 v1, v1, 9, 0x7c00
	s_wait_alu 0xf1ff
	s_delay_alu instid0(VALU_DEP_2) | instskip(SKIP_2) | instid1(VALU_DEP_3)
	v_cndmask_b32_e64 v13, v15, v13, s0
	v_cmp_gt_i32_e64 s0, 31, v23
	v_and_or_b32 v15, 0x8000, v3, v2
	v_and_or_b32 v13, 0x8000, v14, v13
	s_wait_alu 0xf1ff
	s_delay_alu instid0(VALU_DEP_3) | instskip(SKIP_3) | instid1(VALU_DEP_2)
	v_cndmask_b32_e64 v11, 0x7c00, v11, s0
	v_cmp_eq_u32_e64 s0, 0x40f, v23
	v_lshl_or_b32 v14, v15, 16, v0
	s_wait_alu 0xf1ff
	v_cndmask_b32_e64 v1, v11, v1, s0
	v_lshrrev_b32_e32 v11, 16, v12
	v_add_co_u32 v2, s0, v9, s6
	s_wait_alu 0xf1ff
	v_add_co_ci_u32_e64 v3, s0, s7, v10, s0
	s_delay_alu instid0(VALU_DEP_3) | instskip(SKIP_4) | instid1(VALU_DEP_3)
	v_and_or_b32 v0, 0x8000, v11, v1
	v_and_b32_e32 v1, 0xffff, v13
	v_add_co_u32 v11, s0, v2, s6
	s_wait_alu 0xf1ff
	v_add_co_ci_u32_e64 v12, s0, s7, v3, s0
	v_lshl_or_b32 v13, v0, 16, v1
	s_delay_alu instid0(VALU_DEP_3) | instskip(SKIP_1) | instid1(VALU_DEP_3)
	v_add_co_u32 v0, s0, v11, s6
	s_wait_alu 0xf1ff
	v_add_co_ci_u32_e64 v1, s0, s7, v12, s0
	global_store_b32 v[17:18], v6, off
	global_store_b32 v[9:10], v22, off
	;; [unrolled: 1-line block ×5, first 2 shown]
	s_and_b32 exec_lo, exec_lo, vcc_lo
	s_cbranch_execz .LBB0_23
; %bb.22:
	global_load_b32 v2, v[4:5], off offset:156
	ds_load_b32 v3, v72 offset:156
	v_mad_co_u64_u32 v[0:1], null, 0xfffff8bc, s4, v[0:1]
	s_wait_dscnt 0x0
	v_lshrrev_b32_e32 v6, 16, v3
	s_wait_loadcnt 0x0
	v_lshrrev_b32_e32 v9, 16, v2
	s_delay_alu instid0(VALU_DEP_1) | instskip(SKIP_1) | instid1(VALU_DEP_2)
	v_mul_f16_e32 v10, v6, v9
	v_mul_f16_e32 v9, v3, v9
	v_fmac_f16_e32 v10, v3, v2
	s_delay_alu instid0(VALU_DEP_2) | instskip(NEXT) | instid1(VALU_DEP_2)
	v_fma_f16 v2, v2, v6, -v9
	v_cvt_f32_f16_e32 v3, v10
	s_delay_alu instid0(VALU_DEP_2) | instskip(NEXT) | instid1(VALU_DEP_2)
	v_cvt_f32_f16_e32 v6, v2
	v_cvt_f64_f32_e32 v[2:3], v3
	s_delay_alu instid0(VALU_DEP_2) | instskip(NEXT) | instid1(VALU_DEP_2)
	v_cvt_f64_f32_e32 v[9:10], v6
	v_mul_f64_e32 v[2:3], s[8:9], v[2:3]
	s_delay_alu instid0(VALU_DEP_2) | instskip(NEXT) | instid1(VALU_DEP_2)
	v_mul_f64_e32 v[9:10], s[8:9], v[9:10]
	v_and_or_b32 v2, 0x1ff, v3, v2
	s_delay_alu instid0(VALU_DEP_2)
	v_and_or_b32 v9, 0x1ff, v10, v9
	v_lshrrev_b32_e32 v6, 8, v3
	v_bfe_u32 v11, v3, 20, 11
	v_lshrrev_b32_e32 v12, 8, v10
	v_cmp_ne_u32_e32 vcc_lo, 0, v2
	v_bfe_u32 v13, v10, 20, 11
	v_lshrrev_b32_e32 v3, 16, v3
	v_sub_nc_u32_e32 v14, 0x3f1, v11
	v_lshrrev_b32_e32 v10, 16, v10
	s_wait_alu 0xfffd
	v_cndmask_b32_e64 v2, 0, 1, vcc_lo
	v_cmp_ne_u32_e32 vcc_lo, 0, v9
	s_delay_alu instid0(VALU_DEP_2) | instskip(SKIP_3) | instid1(VALU_DEP_2)
	v_and_or_b32 v2, 0xffe, v6, v2
	s_wait_alu 0xfffd
	v_cndmask_b32_e64 v9, 0, 1, vcc_lo
	v_sub_nc_u32_e32 v6, 0x3f1, v13
	v_and_or_b32 v9, 0xffe, v12, v9
	v_med3_i32 v12, v14, 0, 13
	v_or_b32_e32 v14, 0x1000, v2
	s_delay_alu instid0(VALU_DEP_4) | instskip(NEXT) | instid1(VALU_DEP_4)
	v_med3_i32 v6, v6, 0, 13
	v_or_b32_e32 v15, 0x1000, v9
	s_delay_alu instid0(VALU_DEP_3) | instskip(NEXT) | instid1(VALU_DEP_2)
	v_lshrrev_b32_e32 v16, v12, v14
	v_lshrrev_b32_e32 v17, v6, v15
	s_delay_alu instid0(VALU_DEP_2) | instskip(NEXT) | instid1(VALU_DEP_2)
	v_lshlrev_b32_e32 v12, v12, v16
	v_lshlrev_b32_e32 v6, v6, v17
	s_delay_alu instid0(VALU_DEP_2) | instskip(SKIP_2) | instid1(VALU_DEP_3)
	v_cmp_ne_u32_e32 vcc_lo, v12, v14
	s_wait_alu 0xfffd
	v_cndmask_b32_e64 v12, 0, 1, vcc_lo
	v_cmp_ne_u32_e32 vcc_lo, v6, v15
	s_delay_alu instid0(VALU_DEP_2) | instskip(SKIP_3) | instid1(VALU_DEP_2)
	v_or_b32_e32 v12, v16, v12
	v_add_nc_u32_e32 v11, 0xfffffc10, v11
	s_wait_alu 0xfffd
	v_cndmask_b32_e64 v6, 0, 1, vcc_lo
	v_lshl_or_b32 v14, v11, 12, v2
	s_delay_alu instid0(VALU_DEP_2) | instskip(SKIP_2) | instid1(VALU_DEP_2)
	v_or_b32_e32 v6, v17, v6
	v_add_nc_u32_e32 v13, 0xfffffc10, v13
	v_cmp_gt_i32_e32 vcc_lo, 1, v11
	v_lshl_or_b32 v15, v13, 12, v9
	s_wait_alu 0xfffd
	v_cndmask_b32_e32 v12, v14, v12, vcc_lo
	v_cmp_gt_i32_e32 vcc_lo, 1, v13
	s_delay_alu instid0(VALU_DEP_2)
	v_and_b32_e32 v14, 7, v12
	s_wait_alu 0xfffd
	v_cndmask_b32_e32 v6, v15, v6, vcc_lo
	v_cmp_ne_u32_e32 vcc_lo, 0, v2
	v_lshrrev_b32_e32 v12, 2, v12
	v_cmp_eq_u32_e64 s0, 3, v14
	s_wait_alu 0xfffd
	v_cndmask_b32_e64 v2, 0, 1, vcc_lo
	v_cmp_ne_u32_e32 vcc_lo, 0, v9
	s_delay_alu instid0(VALU_DEP_2) | instskip(SKIP_3) | instid1(VALU_DEP_2)
	v_lshl_or_b32 v2, v2, 9, 0x7c00
	s_wait_alu 0xfffd
	v_cndmask_b32_e64 v9, 0, 1, vcc_lo
	v_cmp_lt_i32_e32 vcc_lo, 5, v14
	v_lshl_or_b32 v9, v9, 9, 0x7c00
	s_or_b32 vcc_lo, s0, vcc_lo
	s_mul_i32 s0, s5, 0xfffff8bc
	s_wait_alu 0xfffe
	v_add_co_ci_u32_e32 v12, vcc_lo, 0, v12, vcc_lo
	v_and_b32_e32 v15, 7, v6
	v_lshrrev_b32_e32 v6, 2, v6
	s_sub_co_i32 s0, s0, s4
	s_wait_alu 0xfffe
	v_add_nc_u32_e32 v1, s0, v1
	v_cmp_lt_i32_e64 s1, 5, v15
	v_cmp_eq_u32_e64 s2, 3, v15
	s_delay_alu instid0(VALU_DEP_1)
	s_or_b32 vcc_lo, s2, s1
	s_wait_alu 0xfffe
	v_add_co_ci_u32_e32 v6, vcc_lo, 0, v6, vcc_lo
	v_cmp_gt_i32_e32 vcc_lo, 31, v11
	s_wait_alu 0xfffd
	v_cndmask_b32_e32 v12, 0x7c00, v12, vcc_lo
	v_cmp_gt_i32_e32 vcc_lo, 31, v13
	s_wait_alu 0xfffd
	v_cndmask_b32_e32 v6, 0x7c00, v6, vcc_lo
	v_cmp_eq_u32_e32 vcc_lo, 0x40f, v11
	s_wait_alu 0xfffd
	v_cndmask_b32_e32 v2, v12, v2, vcc_lo
	v_cmp_eq_u32_e32 vcc_lo, 0x40f, v13
	s_delay_alu instid0(VALU_DEP_2) | instskip(SKIP_2) | instid1(VALU_DEP_2)
	v_and_or_b32 v2, 0x8000, v3, v2
	s_wait_alu 0xfffd
	v_cndmask_b32_e32 v6, v6, v9, vcc_lo
	v_and_b32_e32 v2, 0xffff, v2
	s_delay_alu instid0(VALU_DEP_2) | instskip(NEXT) | instid1(VALU_DEP_1)
	v_and_or_b32 v3, 0x8000, v10, v6
	v_lshl_or_b32 v2, v3, 16, v2
	global_store_b32 v[0:1], v2, off
	global_load_b32 v6, v[4:5], off offset:324
	ds_load_2addr_b32 v[2:3], v43 offset0:81 offset1:123
	s_wait_dscnt 0x0
	v_lshrrev_b32_e32 v9, 16, v2
	s_wait_loadcnt 0x0
	v_lshrrev_b32_e32 v10, 16, v6
	s_delay_alu instid0(VALU_DEP_1) | instskip(SKIP_1) | instid1(VALU_DEP_2)
	v_mul_f16_e32 v11, v9, v10
	v_mul_f16_e32 v10, v2, v10
	v_fmac_f16_e32 v11, v2, v6
	s_delay_alu instid0(VALU_DEP_2) | instskip(NEXT) | instid1(VALU_DEP_2)
	v_fma_f16 v2, v6, v9, -v10
	v_cvt_f32_f16_e32 v6, v11
	s_delay_alu instid0(VALU_DEP_2) | instskip(NEXT) | instid1(VALU_DEP_2)
	v_cvt_f32_f16_e32 v2, v2
	v_cvt_f64_f32_e32 v[9:10], v6
	s_delay_alu instid0(VALU_DEP_2) | instskip(NEXT) | instid1(VALU_DEP_2)
	v_cvt_f64_f32_e32 v[11:12], v2
	v_mul_f64_e32 v[9:10], s[8:9], v[9:10]
	s_delay_alu instid0(VALU_DEP_2) | instskip(NEXT) | instid1(VALU_DEP_2)
	v_mul_f64_e32 v[11:12], s[8:9], v[11:12]
	v_and_or_b32 v2, 0x1ff, v10, v9
	s_delay_alu instid0(VALU_DEP_2)
	v_and_or_b32 v11, 0x1ff, v12, v11
	v_lshrrev_b32_e32 v6, 8, v10
	v_bfe_u32 v9, v10, 20, 11
	v_lshrrev_b32_e32 v13, 8, v12
	v_cmp_ne_u32_e32 vcc_lo, 0, v2
	v_bfe_u32 v14, v12, 20, 11
	v_lshrrev_b32_e32 v10, 16, v10
	v_sub_nc_u32_e32 v15, 0x3f1, v9
	s_wait_alu 0xfffd
	v_cndmask_b32_e64 v2, 0, 1, vcc_lo
	v_cmp_ne_u32_e32 vcc_lo, 0, v11
	s_delay_alu instid0(VALU_DEP_2) | instskip(SKIP_4) | instid1(VALU_DEP_3)
	v_and_or_b32 v2, 0xffe, v6, v2
	s_wait_alu 0xfffd
	v_cndmask_b32_e64 v11, 0, 1, vcc_lo
	v_sub_nc_u32_e32 v6, 0x3f1, v14
	v_add_nc_u32_e32 v14, 0xfffffc10, v14
	v_and_or_b32 v11, 0xffe, v13, v11
	v_med3_i32 v13, v15, 0, 13
	v_or_b32_e32 v15, 0x1000, v2
	v_med3_i32 v6, v6, 0, 13
	s_delay_alu instid0(VALU_DEP_4) | instskip(NEXT) | instid1(VALU_DEP_3)
	v_or_b32_e32 v16, 0x1000, v11
	v_lshrrev_b32_e32 v17, v13, v15
	s_delay_alu instid0(VALU_DEP_2) | instskip(NEXT) | instid1(VALU_DEP_2)
	v_lshrrev_b32_e32 v18, v6, v16
	v_lshlrev_b32_e32 v13, v13, v17
	s_delay_alu instid0(VALU_DEP_2) | instskip(NEXT) | instid1(VALU_DEP_2)
	v_lshlrev_b32_e32 v6, v6, v18
	v_cmp_ne_u32_e32 vcc_lo, v13, v15
	s_wait_alu 0xfffd
	v_cndmask_b32_e64 v13, 0, 1, vcc_lo
	s_delay_alu instid0(VALU_DEP_3) | instskip(SKIP_1) | instid1(VALU_DEP_3)
	v_cmp_ne_u32_e32 vcc_lo, v6, v16
	v_lshl_or_b32 v16, v14, 12, v11
	v_or_b32_e32 v13, v17, v13
	s_wait_alu 0xfffd
	v_cndmask_b32_e64 v6, 0, 1, vcc_lo
	s_delay_alu instid0(VALU_DEP_1) | instskip(SKIP_1) | instid1(VALU_DEP_1)
	v_or_b32_e32 v6, v18, v6
	v_add_nc_u32_e32 v9, 0xfffffc10, v9
	v_lshl_or_b32 v15, v9, 12, v2
	v_cmp_gt_i32_e32 vcc_lo, 1, v9
	s_wait_alu 0xfffd
	s_delay_alu instid0(VALU_DEP_2) | instskip(SKIP_2) | instid1(VALU_DEP_2)
	v_cndmask_b32_e32 v13, v15, v13, vcc_lo
	v_cmp_gt_i32_e32 vcc_lo, 1, v14
	s_wait_alu 0xfffd
	v_dual_cndmask_b32 v6, v16, v6 :: v_dual_and_b32 v15, 7, v13
	v_cmp_ne_u32_e32 vcc_lo, 0, v2
	v_lshrrev_b32_e32 v13, 2, v13
	s_delay_alu instid0(VALU_DEP_3) | instskip(NEXT) | instid1(VALU_DEP_4)
	v_cmp_eq_u32_e64 s0, 3, v15
	v_and_b32_e32 v16, 7, v6
	s_wait_alu 0xfffd
	v_cndmask_b32_e64 v2, 0, 1, vcc_lo
	v_cmp_ne_u32_e32 vcc_lo, 0, v11
	v_lshrrev_b32_e32 v6, 2, v6
	v_cmp_lt_i32_e64 s1, 5, v16
	v_cmp_eq_u32_e64 s2, 3, v16
	s_wait_alu 0xfffd
	v_cndmask_b32_e64 v11, 0, 1, vcc_lo
	v_cmp_lt_i32_e32 vcc_lo, 5, v15
	v_lshl_or_b32 v2, v2, 9, 0x7c00
	s_delay_alu instid0(VALU_DEP_3)
	v_lshl_or_b32 v11, v11, 9, 0x7c00
	s_or_b32 vcc_lo, s0, vcc_lo
	s_wait_alu 0xfffe
	v_add_co_ci_u32_e32 v13, vcc_lo, 0, v13, vcc_lo
	s_or_b32 vcc_lo, s2, s1
	s_wait_alu 0xfffe
	v_add_co_ci_u32_e32 v6, vcc_lo, 0, v6, vcc_lo
	v_cmp_gt_i32_e32 vcc_lo, 31, v9
	s_wait_alu 0xfffd
	v_cndmask_b32_e32 v13, 0x7c00, v13, vcc_lo
	v_cmp_gt_i32_e32 vcc_lo, 31, v14
	s_wait_alu 0xfffd
	v_cndmask_b32_e32 v6, 0x7c00, v6, vcc_lo
	v_cmp_eq_u32_e32 vcc_lo, 0x40f, v9
	v_lshrrev_b32_e32 v9, 16, v12
	s_wait_alu 0xfffd
	v_cndmask_b32_e32 v2, v13, v2, vcc_lo
	v_cmp_eq_u32_e32 vcc_lo, 0x40f, v14
	s_delay_alu instid0(VALU_DEP_2)
	v_and_or_b32 v2, 0x8000, v10, v2
	s_wait_alu 0xfffd
	v_cndmask_b32_e32 v6, v6, v11, vcc_lo
	v_add_co_u32 v0, vcc_lo, v0, s6
	s_wait_alu 0xfffd
	v_add_co_ci_u32_e32 v1, vcc_lo, s7, v1, vcc_lo
	s_delay_alu instid0(VALU_DEP_3) | instskip(SKIP_1) | instid1(VALU_DEP_1)
	v_and_or_b32 v6, 0x8000, v9, v6
	v_and_b32_e32 v2, 0xffff, v2
	v_lshl_or_b32 v2, v6, 16, v2
	v_lshrrev_b32_e32 v6, 16, v3
	global_store_b32 v[0:1], v2, off
	global_load_b32 v2, v[4:5], off offset:492
	s_wait_loadcnt 0x0
	v_lshrrev_b32_e32 v9, 16, v2
	s_delay_alu instid0(VALU_DEP_1) | instskip(SKIP_1) | instid1(VALU_DEP_2)
	v_mul_f16_e32 v10, v6, v9
	v_mul_f16_e32 v9, v3, v9
	v_fmac_f16_e32 v10, v3, v2
	s_delay_alu instid0(VALU_DEP_2) | instskip(NEXT) | instid1(VALU_DEP_2)
	v_fma_f16 v2, v2, v6, -v9
	v_cvt_f32_f16_e32 v3, v10
	s_delay_alu instid0(VALU_DEP_2) | instskip(NEXT) | instid1(VALU_DEP_2)
	v_cvt_f32_f16_e32 v6, v2
	v_cvt_f64_f32_e32 v[2:3], v3
	s_delay_alu instid0(VALU_DEP_2) | instskip(NEXT) | instid1(VALU_DEP_2)
	v_cvt_f64_f32_e32 v[9:10], v6
	v_mul_f64_e32 v[2:3], s[8:9], v[2:3]
	s_delay_alu instid0(VALU_DEP_2) | instskip(NEXT) | instid1(VALU_DEP_2)
	v_mul_f64_e32 v[9:10], s[8:9], v[9:10]
	v_and_or_b32 v2, 0x1ff, v3, v2
	s_delay_alu instid0(VALU_DEP_2)
	v_and_or_b32 v9, 0x1ff, v10, v9
	v_lshrrev_b32_e32 v6, 8, v3
	v_bfe_u32 v11, v3, 20, 11
	v_lshrrev_b32_e32 v12, 8, v10
	v_cmp_ne_u32_e32 vcc_lo, 0, v2
	v_bfe_u32 v13, v10, 20, 11
	v_lshrrev_b32_e32 v3, 16, v3
	v_sub_nc_u32_e32 v14, 0x3f1, v11
	v_add_nc_u32_e32 v11, 0xfffffc10, v11
	s_wait_alu 0xfffd
	v_cndmask_b32_e64 v2, 0, 1, vcc_lo
	v_cmp_ne_u32_e32 vcc_lo, 0, v9
	v_lshrrev_b32_e32 v10, 16, v10
	s_delay_alu instid0(VALU_DEP_3) | instskip(SKIP_4) | instid1(VALU_DEP_3)
	v_and_or_b32 v2, 0xffe, v6, v2
	s_wait_alu 0xfffd
	v_cndmask_b32_e64 v9, 0, 1, vcc_lo
	v_sub_nc_u32_e32 v6, 0x3f1, v13
	v_add_nc_u32_e32 v13, 0xfffffc10, v13
	v_and_or_b32 v9, 0xffe, v12, v9
	v_med3_i32 v12, v14, 0, 13
	v_or_b32_e32 v14, 0x1000, v2
	v_med3_i32 v6, v6, 0, 13
	s_delay_alu instid0(VALU_DEP_4) | instskip(NEXT) | instid1(VALU_DEP_3)
	v_or_b32_e32 v15, 0x1000, v9
	v_lshrrev_b32_e32 v16, v12, v14
	s_delay_alu instid0(VALU_DEP_2) | instskip(NEXT) | instid1(VALU_DEP_2)
	v_lshrrev_b32_e32 v17, v6, v15
	v_lshlrev_b32_e32 v12, v12, v16
	s_delay_alu instid0(VALU_DEP_2) | instskip(NEXT) | instid1(VALU_DEP_2)
	v_lshlrev_b32_e32 v6, v6, v17
	v_cmp_ne_u32_e32 vcc_lo, v12, v14
	v_lshl_or_b32 v14, v11, 12, v2
	s_wait_alu 0xfffd
	v_cndmask_b32_e64 v12, 0, 1, vcc_lo
	v_cmp_ne_u32_e32 vcc_lo, v6, v15
	v_lshl_or_b32 v15, v13, 12, v9
	s_delay_alu instid0(VALU_DEP_3) | instskip(SKIP_3) | instid1(VALU_DEP_2)
	v_or_b32_e32 v12, v16, v12
	s_wait_alu 0xfffd
	v_cndmask_b32_e64 v6, 0, 1, vcc_lo
	v_cmp_gt_i32_e32 vcc_lo, 1, v11
	v_or_b32_e32 v6, v17, v6
	s_wait_alu 0xfffd
	v_cndmask_b32_e32 v12, v14, v12, vcc_lo
	v_cmp_gt_i32_e32 vcc_lo, 1, v13
	s_wait_alu 0xfffd
	v_cndmask_b32_e32 v6, v15, v6, vcc_lo
	v_cmp_ne_u32_e32 vcc_lo, 0, v2
	s_delay_alu instid0(VALU_DEP_2)
	v_and_b32_e32 v15, 7, v6
	s_wait_alu 0xfffd
	v_cndmask_b32_e64 v2, 0, 1, vcc_lo
	v_and_b32_e32 v14, 7, v12
	v_cmp_ne_u32_e32 vcc_lo, 0, v9
	v_lshrrev_b32_e32 v12, 2, v12
	v_cmp_lt_i32_e64 s1, 5, v15
	v_cmp_eq_u32_e64 s2, 3, v15
	v_cmp_eq_u32_e64 s0, 3, v14
	s_wait_alu 0xfffd
	v_cndmask_b32_e64 v9, 0, 1, vcc_lo
	v_cmp_lt_i32_e32 vcc_lo, 5, v14
	v_lshrrev_b32_e32 v6, 2, v6
	v_lshl_or_b32 v2, v2, 9, 0x7c00
	s_delay_alu instid0(VALU_DEP_4)
	v_lshl_or_b32 v9, v9, 9, 0x7c00
	s_or_b32 vcc_lo, s0, vcc_lo
	s_wait_alu 0xfffe
	v_add_co_ci_u32_e32 v12, vcc_lo, 0, v12, vcc_lo
	s_or_b32 vcc_lo, s2, s1
	s_wait_alu 0xfffe
	v_add_co_ci_u32_e32 v6, vcc_lo, 0, v6, vcc_lo
	v_cmp_gt_i32_e32 vcc_lo, 31, v11
	s_wait_alu 0xfffd
	v_cndmask_b32_e32 v12, 0x7c00, v12, vcc_lo
	v_cmp_gt_i32_e32 vcc_lo, 31, v13
	s_wait_alu 0xfffd
	v_cndmask_b32_e32 v6, 0x7c00, v6, vcc_lo
	v_cmp_eq_u32_e32 vcc_lo, 0x40f, v11
	s_wait_alu 0xfffd
	v_cndmask_b32_e32 v2, v12, v2, vcc_lo
	v_cmp_eq_u32_e32 vcc_lo, 0x40f, v13
	s_delay_alu instid0(VALU_DEP_2)
	v_and_or_b32 v2, 0x8000, v3, v2
	s_wait_alu 0xfffd
	v_cndmask_b32_e32 v6, v6, v9, vcc_lo
	v_add_co_u32 v0, vcc_lo, v0, s6
	s_wait_alu 0xfffd
	v_add_co_ci_u32_e32 v1, vcc_lo, s7, v1, vcc_lo
	s_delay_alu instid0(VALU_DEP_3) | instskip(SKIP_1) | instid1(VALU_DEP_1)
	v_and_or_b32 v3, 0x8000, v10, v6
	v_and_b32_e32 v2, 0xffff, v2
	v_lshl_or_b32 v2, v3, 16, v2
	global_store_b32 v[0:1], v2, off
	global_load_b32 v6, v[4:5], off offset:660
	ds_load_2addr_b32 v[2:3], v43 offset0:165 offset1:207
	s_wait_dscnt 0x0
	v_lshrrev_b32_e32 v9, 16, v2
	s_wait_loadcnt 0x0
	v_lshrrev_b32_e32 v10, 16, v6
	s_delay_alu instid0(VALU_DEP_1) | instskip(SKIP_1) | instid1(VALU_DEP_2)
	v_mul_f16_e32 v11, v9, v10
	v_mul_f16_e32 v10, v2, v10
	v_fmac_f16_e32 v11, v2, v6
	s_delay_alu instid0(VALU_DEP_2) | instskip(NEXT) | instid1(VALU_DEP_2)
	v_fma_f16 v2, v6, v9, -v10
	v_cvt_f32_f16_e32 v6, v11
	s_delay_alu instid0(VALU_DEP_2) | instskip(NEXT) | instid1(VALU_DEP_2)
	v_cvt_f32_f16_e32 v2, v2
	v_cvt_f64_f32_e32 v[9:10], v6
	s_delay_alu instid0(VALU_DEP_2) | instskip(NEXT) | instid1(VALU_DEP_2)
	v_cvt_f64_f32_e32 v[11:12], v2
	v_mul_f64_e32 v[9:10], s[8:9], v[9:10]
	s_delay_alu instid0(VALU_DEP_2) | instskip(NEXT) | instid1(VALU_DEP_2)
	v_mul_f64_e32 v[11:12], s[8:9], v[11:12]
	v_and_or_b32 v2, 0x1ff, v10, v9
	s_delay_alu instid0(VALU_DEP_2)
	v_and_or_b32 v11, 0x1ff, v12, v11
	v_lshrrev_b32_e32 v6, 8, v10
	v_bfe_u32 v9, v10, 20, 11
	v_lshrrev_b32_e32 v13, 8, v12
	v_cmp_ne_u32_e32 vcc_lo, 0, v2
	v_bfe_u32 v14, v12, 20, 11
	v_lshrrev_b32_e32 v10, 16, v10
	v_sub_nc_u32_e32 v15, 0x3f1, v9
	v_add_nc_u32_e32 v9, 0xfffffc10, v9
	s_wait_alu 0xfffd
	v_cndmask_b32_e64 v2, 0, 1, vcc_lo
	v_cmp_ne_u32_e32 vcc_lo, 0, v11
	s_delay_alu instid0(VALU_DEP_2) | instskip(SKIP_4) | instid1(VALU_DEP_3)
	v_and_or_b32 v2, 0xffe, v6, v2
	s_wait_alu 0xfffd
	v_cndmask_b32_e64 v11, 0, 1, vcc_lo
	v_sub_nc_u32_e32 v6, 0x3f1, v14
	v_add_nc_u32_e32 v14, 0xfffffc10, v14
	v_and_or_b32 v11, 0xffe, v13, v11
	v_med3_i32 v13, v15, 0, 13
	v_or_b32_e32 v15, 0x1000, v2
	v_med3_i32 v6, v6, 0, 13
	s_delay_alu instid0(VALU_DEP_4) | instskip(NEXT) | instid1(VALU_DEP_3)
	v_or_b32_e32 v16, 0x1000, v11
	v_lshrrev_b32_e32 v17, v13, v15
	s_delay_alu instid0(VALU_DEP_2) | instskip(NEXT) | instid1(VALU_DEP_2)
	v_lshrrev_b32_e32 v18, v6, v16
	v_lshlrev_b32_e32 v13, v13, v17
	s_delay_alu instid0(VALU_DEP_2) | instskip(NEXT) | instid1(VALU_DEP_2)
	v_lshlrev_b32_e32 v6, v6, v18
	v_cmp_ne_u32_e32 vcc_lo, v13, v15
	v_lshl_or_b32 v15, v9, 12, v2
	s_wait_alu 0xfffd
	v_cndmask_b32_e64 v13, 0, 1, vcc_lo
	v_cmp_ne_u32_e32 vcc_lo, v6, v16
	v_lshl_or_b32 v16, v14, 12, v11
	s_delay_alu instid0(VALU_DEP_3) | instskip(SKIP_3) | instid1(VALU_DEP_2)
	v_or_b32_e32 v13, v17, v13
	s_wait_alu 0xfffd
	v_cndmask_b32_e64 v6, 0, 1, vcc_lo
	v_cmp_gt_i32_e32 vcc_lo, 1, v9
	v_or_b32_e32 v6, v18, v6
	s_wait_alu 0xfffd
	v_cndmask_b32_e32 v13, v15, v13, vcc_lo
	v_cmp_gt_i32_e32 vcc_lo, 1, v14
	s_wait_alu 0xfffd
	s_delay_alu instid0(VALU_DEP_2) | instskip(SKIP_2) | instid1(VALU_DEP_3)
	v_dual_cndmask_b32 v6, v16, v6 :: v_dual_and_b32 v15, 7, v13
	v_cmp_ne_u32_e32 vcc_lo, 0, v2
	v_lshrrev_b32_e32 v13, 2, v13
	v_cmp_eq_u32_e64 s0, 3, v15
	s_delay_alu instid0(VALU_DEP_4)
	v_and_b32_e32 v16, 7, v6
	s_wait_alu 0xfffd
	v_cndmask_b32_e64 v2, 0, 1, vcc_lo
	v_cmp_ne_u32_e32 vcc_lo, 0, v11
	v_lshrrev_b32_e32 v6, 2, v6
	v_cmp_lt_i32_e64 s1, 5, v16
	v_cmp_eq_u32_e64 s2, 3, v16
	s_wait_alu 0xfffd
	v_cndmask_b32_e64 v11, 0, 1, vcc_lo
	v_cmp_lt_i32_e32 vcc_lo, 5, v15
	v_lshl_or_b32 v2, v2, 9, 0x7c00
	s_delay_alu instid0(VALU_DEP_3)
	v_lshl_or_b32 v11, v11, 9, 0x7c00
	s_or_b32 vcc_lo, s0, vcc_lo
	s_wait_alu 0xfffe
	v_add_co_ci_u32_e32 v13, vcc_lo, 0, v13, vcc_lo
	s_or_b32 vcc_lo, s2, s1
	s_wait_alu 0xfffe
	v_add_co_ci_u32_e32 v6, vcc_lo, 0, v6, vcc_lo
	v_cmp_gt_i32_e32 vcc_lo, 31, v9
	s_wait_alu 0xfffd
	v_cndmask_b32_e32 v13, 0x7c00, v13, vcc_lo
	v_cmp_gt_i32_e32 vcc_lo, 31, v14
	s_wait_alu 0xfffd
	v_cndmask_b32_e32 v6, 0x7c00, v6, vcc_lo
	v_cmp_eq_u32_e32 vcc_lo, 0x40f, v9
	v_lshrrev_b32_e32 v9, 16, v12
	s_wait_alu 0xfffd
	v_cndmask_b32_e32 v2, v13, v2, vcc_lo
	v_cmp_eq_u32_e32 vcc_lo, 0x40f, v14
	s_delay_alu instid0(VALU_DEP_2)
	v_and_or_b32 v2, 0x8000, v10, v2
	s_wait_alu 0xfffd
	v_cndmask_b32_e32 v6, v6, v11, vcc_lo
	v_add_co_u32 v0, vcc_lo, v0, s6
	s_wait_alu 0xfffd
	v_add_co_ci_u32_e32 v1, vcc_lo, s7, v1, vcc_lo
	s_delay_alu instid0(VALU_DEP_3) | instskip(SKIP_1) | instid1(VALU_DEP_1)
	v_and_or_b32 v6, 0x8000, v9, v6
	v_and_b32_e32 v2, 0xffff, v2
	v_lshl_or_b32 v2, v6, 16, v2
	v_lshrrev_b32_e32 v6, 16, v3
	global_store_b32 v[0:1], v2, off
	global_load_b32 v2, v[4:5], off offset:828
	s_wait_loadcnt 0x0
	v_lshrrev_b32_e32 v9, 16, v2
	s_delay_alu instid0(VALU_DEP_1) | instskip(SKIP_1) | instid1(VALU_DEP_2)
	v_mul_f16_e32 v10, v6, v9
	v_mul_f16_e32 v9, v3, v9
	v_fmac_f16_e32 v10, v3, v2
	s_delay_alu instid0(VALU_DEP_2) | instskip(NEXT) | instid1(VALU_DEP_2)
	v_fma_f16 v2, v2, v6, -v9
	v_cvt_f32_f16_e32 v3, v10
	s_delay_alu instid0(VALU_DEP_2) | instskip(NEXT) | instid1(VALU_DEP_2)
	v_cvt_f32_f16_e32 v6, v2
	v_cvt_f64_f32_e32 v[2:3], v3
	s_delay_alu instid0(VALU_DEP_2) | instskip(NEXT) | instid1(VALU_DEP_2)
	v_cvt_f64_f32_e32 v[9:10], v6
	v_mul_f64_e32 v[2:3], s[8:9], v[2:3]
	s_delay_alu instid0(VALU_DEP_2) | instskip(NEXT) | instid1(VALU_DEP_2)
	v_mul_f64_e32 v[9:10], s[8:9], v[9:10]
	v_and_or_b32 v2, 0x1ff, v3, v2
	s_delay_alu instid0(VALU_DEP_2)
	v_and_or_b32 v9, 0x1ff, v10, v9
	v_lshrrev_b32_e32 v6, 8, v3
	v_bfe_u32 v11, v3, 20, 11
	v_lshrrev_b32_e32 v12, 8, v10
	v_cmp_ne_u32_e32 vcc_lo, 0, v2
	v_bfe_u32 v13, v10, 20, 11
	v_lshrrev_b32_e32 v3, 16, v3
	v_sub_nc_u32_e32 v14, 0x3f1, v11
	v_add_nc_u32_e32 v11, 0xfffffc10, v11
	s_wait_alu 0xfffd
	v_cndmask_b32_e64 v2, 0, 1, vcc_lo
	v_cmp_ne_u32_e32 vcc_lo, 0, v9
	v_lshrrev_b32_e32 v10, 16, v10
	s_delay_alu instid0(VALU_DEP_3) | instskip(SKIP_4) | instid1(VALU_DEP_3)
	v_and_or_b32 v2, 0xffe, v6, v2
	s_wait_alu 0xfffd
	v_cndmask_b32_e64 v9, 0, 1, vcc_lo
	v_sub_nc_u32_e32 v6, 0x3f1, v13
	v_add_nc_u32_e32 v13, 0xfffffc10, v13
	v_and_or_b32 v9, 0xffe, v12, v9
	v_med3_i32 v12, v14, 0, 13
	v_or_b32_e32 v14, 0x1000, v2
	v_med3_i32 v6, v6, 0, 13
	s_delay_alu instid0(VALU_DEP_4) | instskip(NEXT) | instid1(VALU_DEP_3)
	v_or_b32_e32 v15, 0x1000, v9
	v_lshrrev_b32_e32 v16, v12, v14
	s_delay_alu instid0(VALU_DEP_2) | instskip(NEXT) | instid1(VALU_DEP_2)
	v_lshrrev_b32_e32 v17, v6, v15
	v_lshlrev_b32_e32 v12, v12, v16
	s_delay_alu instid0(VALU_DEP_2) | instskip(NEXT) | instid1(VALU_DEP_2)
	v_lshlrev_b32_e32 v6, v6, v17
	v_cmp_ne_u32_e32 vcc_lo, v12, v14
	v_lshl_or_b32 v14, v11, 12, v2
	s_wait_alu 0xfffd
	v_cndmask_b32_e64 v12, 0, 1, vcc_lo
	v_cmp_ne_u32_e32 vcc_lo, v6, v15
	v_lshl_or_b32 v15, v13, 12, v9
	s_delay_alu instid0(VALU_DEP_3) | instskip(SKIP_3) | instid1(VALU_DEP_2)
	v_or_b32_e32 v12, v16, v12
	s_wait_alu 0xfffd
	v_cndmask_b32_e64 v6, 0, 1, vcc_lo
	v_cmp_gt_i32_e32 vcc_lo, 1, v11
	v_or_b32_e32 v6, v17, v6
	s_wait_alu 0xfffd
	v_cndmask_b32_e32 v12, v14, v12, vcc_lo
	v_cmp_gt_i32_e32 vcc_lo, 1, v13
	s_wait_alu 0xfffd
	v_cndmask_b32_e32 v6, v15, v6, vcc_lo
	v_cmp_ne_u32_e32 vcc_lo, 0, v2
	s_delay_alu instid0(VALU_DEP_2)
	v_and_b32_e32 v15, 7, v6
	s_wait_alu 0xfffd
	v_cndmask_b32_e64 v2, 0, 1, vcc_lo
	v_and_b32_e32 v14, 7, v12
	v_cmp_ne_u32_e32 vcc_lo, 0, v9
	v_lshrrev_b32_e32 v12, 2, v12
	v_cmp_lt_i32_e64 s1, 5, v15
	v_cmp_eq_u32_e64 s2, 3, v15
	v_cmp_eq_u32_e64 s0, 3, v14
	s_wait_alu 0xfffd
	v_cndmask_b32_e64 v9, 0, 1, vcc_lo
	v_cmp_lt_i32_e32 vcc_lo, 5, v14
	v_lshrrev_b32_e32 v6, 2, v6
	v_lshl_or_b32 v2, v2, 9, 0x7c00
	s_delay_alu instid0(VALU_DEP_4)
	v_lshl_or_b32 v9, v9, 9, 0x7c00
	s_or_b32 vcc_lo, s0, vcc_lo
	s_wait_alu 0xfffe
	v_add_co_ci_u32_e32 v12, vcc_lo, 0, v12, vcc_lo
	s_or_b32 vcc_lo, s2, s1
	s_wait_alu 0xfffe
	v_add_co_ci_u32_e32 v6, vcc_lo, 0, v6, vcc_lo
	v_cmp_gt_i32_e32 vcc_lo, 31, v11
	s_wait_alu 0xfffd
	v_cndmask_b32_e32 v12, 0x7c00, v12, vcc_lo
	v_cmp_gt_i32_e32 vcc_lo, 31, v13
	s_wait_alu 0xfffd
	v_cndmask_b32_e32 v6, 0x7c00, v6, vcc_lo
	v_cmp_eq_u32_e32 vcc_lo, 0x40f, v11
	s_wait_alu 0xfffd
	v_cndmask_b32_e32 v2, v12, v2, vcc_lo
	v_cmp_eq_u32_e32 vcc_lo, 0x40f, v13
	s_delay_alu instid0(VALU_DEP_2)
	v_and_or_b32 v2, 0x8000, v3, v2
	s_wait_alu 0xfffd
	v_cndmask_b32_e32 v6, v6, v9, vcc_lo
	v_add_co_u32 v0, vcc_lo, v0, s6
	s_wait_alu 0xfffd
	v_add_co_ci_u32_e32 v1, vcc_lo, s7, v1, vcc_lo
	s_delay_alu instid0(VALU_DEP_3) | instskip(SKIP_1) | instid1(VALU_DEP_1)
	v_and_or_b32 v3, 0x8000, v10, v6
	v_and_b32_e32 v2, 0xffff, v2
	v_lshl_or_b32 v2, v3, 16, v2
	global_store_b32 v[0:1], v2, off
	global_load_b32 v6, v[4:5], off offset:996
	ds_load_2addr_b32 v[2:3], v8 offset0:121 offset1:163
	s_wait_dscnt 0x0
	v_lshrrev_b32_e32 v8, 16, v2
	s_wait_loadcnt 0x0
	v_lshrrev_b32_e32 v9, 16, v6
	s_delay_alu instid0(VALU_DEP_1) | instskip(SKIP_1) | instid1(VALU_DEP_2)
	v_mul_f16_e32 v10, v8, v9
	v_mul_f16_e32 v9, v2, v9
	v_fmac_f16_e32 v10, v2, v6
	s_delay_alu instid0(VALU_DEP_2) | instskip(NEXT) | instid1(VALU_DEP_2)
	v_fma_f16 v2, v6, v8, -v9
	v_cvt_f32_f16_e32 v6, v10
	s_delay_alu instid0(VALU_DEP_2) | instskip(NEXT) | instid1(VALU_DEP_2)
	v_cvt_f32_f16_e32 v2, v2
	v_cvt_f64_f32_e32 v[8:9], v6
	s_delay_alu instid0(VALU_DEP_2) | instskip(NEXT) | instid1(VALU_DEP_2)
	v_cvt_f64_f32_e32 v[10:11], v2
	v_mul_f64_e32 v[8:9], s[8:9], v[8:9]
	s_delay_alu instid0(VALU_DEP_2) | instskip(NEXT) | instid1(VALU_DEP_2)
	v_mul_f64_e32 v[10:11], s[8:9], v[10:11]
	v_and_or_b32 v2, 0x1ff, v9, v8
	s_delay_alu instid0(VALU_DEP_2)
	v_and_or_b32 v10, 0x1ff, v11, v10
	v_lshrrev_b32_e32 v6, 8, v9
	v_bfe_u32 v8, v9, 20, 11
	v_lshrrev_b32_e32 v12, 8, v11
	v_cmp_ne_u32_e32 vcc_lo, 0, v2
	v_bfe_u32 v13, v11, 20, 11
	v_lshrrev_b32_e32 v9, 16, v9
	v_sub_nc_u32_e32 v14, 0x3f1, v8
	v_add_nc_u32_e32 v8, 0xfffffc10, v8
	s_wait_alu 0xfffd
	v_cndmask_b32_e64 v2, 0, 1, vcc_lo
	v_cmp_ne_u32_e32 vcc_lo, 0, v10
	s_delay_alu instid0(VALU_DEP_2) | instskip(SKIP_4) | instid1(VALU_DEP_3)
	v_and_or_b32 v2, 0xffe, v6, v2
	s_wait_alu 0xfffd
	v_cndmask_b32_e64 v10, 0, 1, vcc_lo
	v_sub_nc_u32_e32 v6, 0x3f1, v13
	v_add_nc_u32_e32 v13, 0xfffffc10, v13
	v_and_or_b32 v10, 0xffe, v12, v10
	v_med3_i32 v12, v14, 0, 13
	v_or_b32_e32 v14, 0x1000, v2
	v_med3_i32 v6, v6, 0, 13
	s_delay_alu instid0(VALU_DEP_4) | instskip(NEXT) | instid1(VALU_DEP_3)
	v_or_b32_e32 v15, 0x1000, v10
	v_lshrrev_b32_e32 v16, v12, v14
	s_delay_alu instid0(VALU_DEP_2) | instskip(NEXT) | instid1(VALU_DEP_2)
	v_lshrrev_b32_e32 v17, v6, v15
	v_lshlrev_b32_e32 v12, v12, v16
	s_delay_alu instid0(VALU_DEP_2) | instskip(NEXT) | instid1(VALU_DEP_2)
	v_lshlrev_b32_e32 v6, v6, v17
	v_cmp_ne_u32_e32 vcc_lo, v12, v14
	v_lshl_or_b32 v14, v8, 12, v2
	s_wait_alu 0xfffd
	v_cndmask_b32_e64 v12, 0, 1, vcc_lo
	v_cmp_ne_u32_e32 vcc_lo, v6, v15
	v_lshl_or_b32 v15, v13, 12, v10
	s_delay_alu instid0(VALU_DEP_3) | instskip(SKIP_3) | instid1(VALU_DEP_2)
	v_or_b32_e32 v12, v16, v12
	s_wait_alu 0xfffd
	v_cndmask_b32_e64 v6, 0, 1, vcc_lo
	v_cmp_gt_i32_e32 vcc_lo, 1, v8
	v_or_b32_e32 v6, v17, v6
	s_wait_alu 0xfffd
	v_cndmask_b32_e32 v12, v14, v12, vcc_lo
	v_cmp_gt_i32_e32 vcc_lo, 1, v13
	s_delay_alu instid0(VALU_DEP_2)
	v_and_b32_e32 v14, 7, v12
	s_wait_alu 0xfffd
	v_cndmask_b32_e32 v6, v15, v6, vcc_lo
	v_cmp_ne_u32_e32 vcc_lo, 0, v2
	v_lshrrev_b32_e32 v12, 2, v12
	v_cmp_eq_u32_e64 s0, 3, v14
	s_delay_alu instid0(VALU_DEP_4)
	v_and_b32_e32 v15, 7, v6
	s_wait_alu 0xfffd
	v_cndmask_b32_e64 v2, 0, 1, vcc_lo
	v_cmp_ne_u32_e32 vcc_lo, 0, v10
	v_lshrrev_b32_e32 v6, 2, v6
	v_cmp_lt_i32_e64 s1, 5, v15
	v_cmp_eq_u32_e64 s2, 3, v15
	s_wait_alu 0xfffd
	v_cndmask_b32_e64 v10, 0, 1, vcc_lo
	v_cmp_lt_i32_e32 vcc_lo, 5, v14
	v_lshl_or_b32 v2, v2, 9, 0x7c00
	s_delay_alu instid0(VALU_DEP_3)
	v_lshl_or_b32 v10, v10, 9, 0x7c00
	s_or_b32 vcc_lo, s0, vcc_lo
	s_wait_alu 0xfffe
	v_add_co_ci_u32_e32 v12, vcc_lo, 0, v12, vcc_lo
	s_or_b32 vcc_lo, s2, s1
	s_wait_alu 0xfffe
	v_add_co_ci_u32_e32 v6, vcc_lo, 0, v6, vcc_lo
	v_cmp_gt_i32_e32 vcc_lo, 31, v8
	s_wait_alu 0xfffd
	v_cndmask_b32_e32 v12, 0x7c00, v12, vcc_lo
	v_cmp_gt_i32_e32 vcc_lo, 31, v13
	s_wait_alu 0xfffd
	v_cndmask_b32_e32 v6, 0x7c00, v6, vcc_lo
	v_cmp_eq_u32_e32 vcc_lo, 0x40f, v8
	v_lshrrev_b32_e32 v8, 16, v11
	s_wait_alu 0xfffd
	v_cndmask_b32_e32 v2, v12, v2, vcc_lo
	v_cmp_eq_u32_e32 vcc_lo, 0x40f, v13
	s_delay_alu instid0(VALU_DEP_2)
	v_and_or_b32 v2, 0x8000, v9, v2
	s_wait_alu 0xfffd
	v_cndmask_b32_e32 v6, v6, v10, vcc_lo
	v_add_co_u32 v0, vcc_lo, v0, s6
	s_wait_alu 0xfffd
	v_add_co_ci_u32_e32 v1, vcc_lo, s7, v1, vcc_lo
	s_delay_alu instid0(VALU_DEP_3) | instskip(SKIP_1) | instid1(VALU_DEP_1)
	v_and_or_b32 v6, 0x8000, v8, v6
	v_and_b32_e32 v2, 0xffff, v2
	v_lshl_or_b32 v2, v6, 16, v2
	v_lshrrev_b32_e32 v6, 16, v3
	global_store_b32 v[0:1], v2, off
	global_load_b32 v2, v[4:5], off offset:1164
	s_wait_loadcnt 0x0
	v_lshrrev_b32_e32 v8, 16, v2
	s_delay_alu instid0(VALU_DEP_1) | instskip(SKIP_1) | instid1(VALU_DEP_2)
	v_mul_f16_e32 v9, v6, v8
	v_mul_f16_e32 v8, v3, v8
	v_fmac_f16_e32 v9, v3, v2
	s_delay_alu instid0(VALU_DEP_2) | instskip(NEXT) | instid1(VALU_DEP_2)
	v_fma_f16 v2, v2, v6, -v8
	v_cvt_f32_f16_e32 v3, v9
	s_delay_alu instid0(VALU_DEP_2) | instskip(NEXT) | instid1(VALU_DEP_2)
	v_cvt_f32_f16_e32 v6, v2
	v_cvt_f64_f32_e32 v[2:3], v3
	s_delay_alu instid0(VALU_DEP_2) | instskip(NEXT) | instid1(VALU_DEP_2)
	v_cvt_f64_f32_e32 v[8:9], v6
	v_mul_f64_e32 v[2:3], s[8:9], v[2:3]
	s_delay_alu instid0(VALU_DEP_2) | instskip(NEXT) | instid1(VALU_DEP_2)
	v_mul_f64_e32 v[8:9], s[8:9], v[8:9]
	v_and_or_b32 v2, 0x1ff, v3, v2
	s_delay_alu instid0(VALU_DEP_2)
	v_and_or_b32 v8, 0x1ff, v9, v8
	v_lshrrev_b32_e32 v6, 8, v3
	v_bfe_u32 v10, v3, 20, 11
	v_lshrrev_b32_e32 v11, 8, v9
	v_cmp_ne_u32_e32 vcc_lo, 0, v2
	v_bfe_u32 v12, v9, 20, 11
	v_lshrrev_b32_e32 v3, 16, v3
	v_sub_nc_u32_e32 v13, 0x3f1, v10
	v_add_nc_u32_e32 v10, 0xfffffc10, v10
	s_wait_alu 0xfffd
	v_cndmask_b32_e64 v2, 0, 1, vcc_lo
	v_cmp_ne_u32_e32 vcc_lo, 0, v8
	v_lshrrev_b32_e32 v9, 16, v9
	s_delay_alu instid0(VALU_DEP_3) | instskip(SKIP_4) | instid1(VALU_DEP_3)
	v_and_or_b32 v2, 0xffe, v6, v2
	s_wait_alu 0xfffd
	v_cndmask_b32_e64 v8, 0, 1, vcc_lo
	v_sub_nc_u32_e32 v6, 0x3f1, v12
	v_add_nc_u32_e32 v12, 0xfffffc10, v12
	v_and_or_b32 v8, 0xffe, v11, v8
	v_med3_i32 v11, v13, 0, 13
	v_or_b32_e32 v13, 0x1000, v2
	v_med3_i32 v6, v6, 0, 13
	s_delay_alu instid0(VALU_DEP_4) | instskip(NEXT) | instid1(VALU_DEP_3)
	v_or_b32_e32 v14, 0x1000, v8
	v_lshrrev_b32_e32 v15, v11, v13
	s_delay_alu instid0(VALU_DEP_2) | instskip(NEXT) | instid1(VALU_DEP_2)
	v_lshrrev_b32_e32 v16, v6, v14
	v_lshlrev_b32_e32 v11, v11, v15
	s_delay_alu instid0(VALU_DEP_2) | instskip(NEXT) | instid1(VALU_DEP_2)
	v_lshlrev_b32_e32 v6, v6, v16
	v_cmp_ne_u32_e32 vcc_lo, v11, v13
	v_lshl_or_b32 v13, v10, 12, v2
	s_wait_alu 0xfffd
	v_cndmask_b32_e64 v11, 0, 1, vcc_lo
	v_cmp_ne_u32_e32 vcc_lo, v6, v14
	v_lshl_or_b32 v14, v12, 12, v8
	s_delay_alu instid0(VALU_DEP_3) | instskip(SKIP_3) | instid1(VALU_DEP_2)
	v_or_b32_e32 v11, v15, v11
	s_wait_alu 0xfffd
	v_cndmask_b32_e64 v6, 0, 1, vcc_lo
	v_cmp_gt_i32_e32 vcc_lo, 1, v10
	v_or_b32_e32 v6, v16, v6
	s_wait_alu 0xfffd
	v_cndmask_b32_e32 v11, v13, v11, vcc_lo
	v_cmp_gt_i32_e32 vcc_lo, 1, v12
	s_wait_alu 0xfffd
	s_delay_alu instid0(VALU_DEP_2) | instskip(SKIP_2) | instid1(VALU_DEP_3)
	v_dual_cndmask_b32 v6, v14, v6 :: v_dual_and_b32 v13, 7, v11
	v_cmp_ne_u32_e32 vcc_lo, 0, v2
	v_lshrrev_b32_e32 v11, 2, v11
	v_cmp_eq_u32_e64 s0, 3, v13
	s_delay_alu instid0(VALU_DEP_4)
	v_and_b32_e32 v14, 7, v6
	s_wait_alu 0xfffd
	v_cndmask_b32_e64 v2, 0, 1, vcc_lo
	v_cmp_ne_u32_e32 vcc_lo, 0, v8
	v_lshrrev_b32_e32 v6, 2, v6
	v_cmp_lt_i32_e64 s1, 5, v14
	v_cmp_eq_u32_e64 s2, 3, v14
	s_wait_alu 0xfffd
	v_cndmask_b32_e64 v8, 0, 1, vcc_lo
	v_cmp_lt_i32_e32 vcc_lo, 5, v13
	v_lshl_or_b32 v2, v2, 9, 0x7c00
	s_delay_alu instid0(VALU_DEP_3)
	v_lshl_or_b32 v8, v8, 9, 0x7c00
	s_or_b32 vcc_lo, s0, vcc_lo
	s_wait_alu 0xfffe
	v_add_co_ci_u32_e32 v11, vcc_lo, 0, v11, vcc_lo
	s_or_b32 vcc_lo, s2, s1
	s_wait_alu 0xfffe
	v_add_co_ci_u32_e32 v6, vcc_lo, 0, v6, vcc_lo
	v_cmp_gt_i32_e32 vcc_lo, 31, v10
	s_wait_alu 0xfffd
	v_cndmask_b32_e32 v11, 0x7c00, v11, vcc_lo
	v_cmp_gt_i32_e32 vcc_lo, 31, v12
	s_wait_alu 0xfffd
	v_cndmask_b32_e32 v6, 0x7c00, v6, vcc_lo
	v_cmp_eq_u32_e32 vcc_lo, 0x40f, v10
	s_wait_alu 0xfffd
	v_cndmask_b32_e32 v2, v11, v2, vcc_lo
	v_cmp_eq_u32_e32 vcc_lo, 0x40f, v12
	s_delay_alu instid0(VALU_DEP_2)
	v_and_or_b32 v2, 0x8000, v3, v2
	s_wait_alu 0xfffd
	v_cndmask_b32_e32 v6, v6, v8, vcc_lo
	v_add_co_u32 v0, vcc_lo, v0, s6
	s_wait_alu 0xfffd
	v_add_co_ci_u32_e32 v1, vcc_lo, s7, v1, vcc_lo
	s_delay_alu instid0(VALU_DEP_3) | instskip(SKIP_1) | instid1(VALU_DEP_1)
	v_and_or_b32 v3, 0x8000, v9, v6
	v_and_b32_e32 v2, 0xffff, v2
	v_lshl_or_b32 v2, v3, 16, v2
	global_store_b32 v[0:1], v2, off
	global_load_b32 v6, v[4:5], off offset:1332
	ds_load_2addr_b32 v[2:3], v7 offset0:77 offset1:119
	s_wait_dscnt 0x0
	v_lshrrev_b32_e32 v8, 16, v2
	s_wait_loadcnt 0x0
	v_lshrrev_b32_e32 v9, 16, v6
	s_delay_alu instid0(VALU_DEP_1) | instskip(SKIP_1) | instid1(VALU_DEP_2)
	v_mul_f16_e32 v10, v8, v9
	v_mul_f16_e32 v9, v2, v9
	v_fmac_f16_e32 v10, v2, v6
	s_delay_alu instid0(VALU_DEP_2) | instskip(NEXT) | instid1(VALU_DEP_2)
	v_fma_f16 v2, v6, v8, -v9
	v_cvt_f32_f16_e32 v6, v10
	s_delay_alu instid0(VALU_DEP_2) | instskip(NEXT) | instid1(VALU_DEP_2)
	v_cvt_f32_f16_e32 v2, v2
	v_cvt_f64_f32_e32 v[8:9], v6
	s_delay_alu instid0(VALU_DEP_2) | instskip(NEXT) | instid1(VALU_DEP_2)
	v_cvt_f64_f32_e32 v[10:11], v2
	v_mul_f64_e32 v[8:9], s[8:9], v[8:9]
	s_delay_alu instid0(VALU_DEP_2) | instskip(NEXT) | instid1(VALU_DEP_2)
	v_mul_f64_e32 v[10:11], s[8:9], v[10:11]
	v_and_or_b32 v2, 0x1ff, v9, v8
	s_delay_alu instid0(VALU_DEP_2)
	v_and_or_b32 v10, 0x1ff, v11, v10
	v_lshrrev_b32_e32 v6, 8, v9
	v_bfe_u32 v8, v9, 20, 11
	v_lshrrev_b32_e32 v12, 8, v11
	v_cmp_ne_u32_e32 vcc_lo, 0, v2
	v_bfe_u32 v13, v11, 20, 11
	v_lshrrev_b32_e32 v9, 16, v9
	v_sub_nc_u32_e32 v14, 0x3f1, v8
	v_add_nc_u32_e32 v8, 0xfffffc10, v8
	s_wait_alu 0xfffd
	v_cndmask_b32_e64 v2, 0, 1, vcc_lo
	v_cmp_ne_u32_e32 vcc_lo, 0, v10
	s_delay_alu instid0(VALU_DEP_2) | instskip(SKIP_4) | instid1(VALU_DEP_3)
	v_and_or_b32 v2, 0xffe, v6, v2
	s_wait_alu 0xfffd
	v_cndmask_b32_e64 v10, 0, 1, vcc_lo
	v_sub_nc_u32_e32 v6, 0x3f1, v13
	v_add_nc_u32_e32 v13, 0xfffffc10, v13
	v_and_or_b32 v10, 0xffe, v12, v10
	v_med3_i32 v12, v14, 0, 13
	v_or_b32_e32 v14, 0x1000, v2
	v_med3_i32 v6, v6, 0, 13
	s_delay_alu instid0(VALU_DEP_4) | instskip(NEXT) | instid1(VALU_DEP_3)
	v_or_b32_e32 v15, 0x1000, v10
	v_lshrrev_b32_e32 v16, v12, v14
	s_delay_alu instid0(VALU_DEP_2) | instskip(NEXT) | instid1(VALU_DEP_2)
	v_lshrrev_b32_e32 v17, v6, v15
	v_lshlrev_b32_e32 v12, v12, v16
	s_delay_alu instid0(VALU_DEP_2) | instskip(NEXT) | instid1(VALU_DEP_2)
	v_lshlrev_b32_e32 v6, v6, v17
	v_cmp_ne_u32_e32 vcc_lo, v12, v14
	v_lshl_or_b32 v14, v8, 12, v2
	s_wait_alu 0xfffd
	v_cndmask_b32_e64 v12, 0, 1, vcc_lo
	v_cmp_ne_u32_e32 vcc_lo, v6, v15
	v_lshl_or_b32 v15, v13, 12, v10
	s_delay_alu instid0(VALU_DEP_3) | instskip(SKIP_3) | instid1(VALU_DEP_2)
	v_or_b32_e32 v12, v16, v12
	s_wait_alu 0xfffd
	v_cndmask_b32_e64 v6, 0, 1, vcc_lo
	v_cmp_gt_i32_e32 vcc_lo, 1, v8
	v_or_b32_e32 v6, v17, v6
	s_wait_alu 0xfffd
	v_cndmask_b32_e32 v12, v14, v12, vcc_lo
	v_cmp_gt_i32_e32 vcc_lo, 1, v13
	s_delay_alu instid0(VALU_DEP_2)
	v_and_b32_e32 v14, 7, v12
	s_wait_alu 0xfffd
	v_cndmask_b32_e32 v6, v15, v6, vcc_lo
	v_cmp_ne_u32_e32 vcc_lo, 0, v2
	v_lshrrev_b32_e32 v12, 2, v12
	v_cmp_eq_u32_e64 s0, 3, v14
	s_delay_alu instid0(VALU_DEP_4)
	v_and_b32_e32 v15, 7, v6
	s_wait_alu 0xfffd
	v_cndmask_b32_e64 v2, 0, 1, vcc_lo
	v_cmp_ne_u32_e32 vcc_lo, 0, v10
	v_lshrrev_b32_e32 v6, 2, v6
	v_cmp_lt_i32_e64 s1, 5, v15
	v_cmp_eq_u32_e64 s2, 3, v15
	s_wait_alu 0xfffd
	v_cndmask_b32_e64 v10, 0, 1, vcc_lo
	v_cmp_lt_i32_e32 vcc_lo, 5, v14
	v_lshl_or_b32 v2, v2, 9, 0x7c00
	s_delay_alu instid0(VALU_DEP_3)
	v_lshl_or_b32 v10, v10, 9, 0x7c00
	s_or_b32 vcc_lo, s0, vcc_lo
	s_wait_alu 0xfffe
	v_add_co_ci_u32_e32 v12, vcc_lo, 0, v12, vcc_lo
	s_or_b32 vcc_lo, s2, s1
	s_wait_alu 0xfffe
	v_add_co_ci_u32_e32 v6, vcc_lo, 0, v6, vcc_lo
	v_cmp_gt_i32_e32 vcc_lo, 31, v8
	s_wait_alu 0xfffd
	v_cndmask_b32_e32 v12, 0x7c00, v12, vcc_lo
	v_cmp_gt_i32_e32 vcc_lo, 31, v13
	s_wait_alu 0xfffd
	v_cndmask_b32_e32 v6, 0x7c00, v6, vcc_lo
	v_cmp_eq_u32_e32 vcc_lo, 0x40f, v8
	v_lshrrev_b32_e32 v8, 16, v11
	s_wait_alu 0xfffd
	v_cndmask_b32_e32 v2, v12, v2, vcc_lo
	v_cmp_eq_u32_e32 vcc_lo, 0x40f, v13
	s_delay_alu instid0(VALU_DEP_2)
	v_and_or_b32 v2, 0x8000, v9, v2
	s_wait_alu 0xfffd
	v_cndmask_b32_e32 v6, v6, v10, vcc_lo
	v_add_co_u32 v0, vcc_lo, v0, s6
	s_wait_alu 0xfffd
	v_add_co_ci_u32_e32 v1, vcc_lo, s7, v1, vcc_lo
	s_delay_alu instid0(VALU_DEP_3) | instskip(SKIP_1) | instid1(VALU_DEP_1)
	v_and_or_b32 v6, 0x8000, v8, v6
	v_and_b32_e32 v2, 0xffff, v2
	v_lshl_or_b32 v2, v6, 16, v2
	v_lshrrev_b32_e32 v6, 16, v3
	global_store_b32 v[0:1], v2, off
	global_load_b32 v2, v[4:5], off offset:1500
	s_wait_loadcnt 0x0
	v_lshrrev_b32_e32 v8, 16, v2
	s_delay_alu instid0(VALU_DEP_1) | instskip(SKIP_1) | instid1(VALU_DEP_2)
	v_mul_f16_e32 v9, v6, v8
	v_mul_f16_e32 v8, v3, v8
	v_fmac_f16_e32 v9, v3, v2
	s_delay_alu instid0(VALU_DEP_2) | instskip(NEXT) | instid1(VALU_DEP_2)
	v_fma_f16 v2, v2, v6, -v8
	v_cvt_f32_f16_e32 v3, v9
	s_delay_alu instid0(VALU_DEP_2) | instskip(NEXT) | instid1(VALU_DEP_2)
	v_cvt_f32_f16_e32 v6, v2
	v_cvt_f64_f32_e32 v[2:3], v3
	s_delay_alu instid0(VALU_DEP_2) | instskip(NEXT) | instid1(VALU_DEP_2)
	v_cvt_f64_f32_e32 v[8:9], v6
	v_mul_f64_e32 v[2:3], s[8:9], v[2:3]
	s_delay_alu instid0(VALU_DEP_2) | instskip(NEXT) | instid1(VALU_DEP_2)
	v_mul_f64_e32 v[8:9], s[8:9], v[8:9]
	v_and_or_b32 v2, 0x1ff, v3, v2
	s_delay_alu instid0(VALU_DEP_2)
	v_and_or_b32 v8, 0x1ff, v9, v8
	v_lshrrev_b32_e32 v6, 8, v3
	v_bfe_u32 v10, v3, 20, 11
	v_lshrrev_b32_e32 v11, 8, v9
	v_cmp_ne_u32_e32 vcc_lo, 0, v2
	v_bfe_u32 v12, v9, 20, 11
	v_lshrrev_b32_e32 v3, 16, v3
	v_sub_nc_u32_e32 v13, 0x3f1, v10
	v_add_nc_u32_e32 v10, 0xfffffc10, v10
	s_wait_alu 0xfffd
	v_cndmask_b32_e64 v2, 0, 1, vcc_lo
	v_cmp_ne_u32_e32 vcc_lo, 0, v8
	v_lshrrev_b32_e32 v9, 16, v9
	s_delay_alu instid0(VALU_DEP_3) | instskip(SKIP_4) | instid1(VALU_DEP_3)
	v_and_or_b32 v2, 0xffe, v6, v2
	s_wait_alu 0xfffd
	v_cndmask_b32_e64 v8, 0, 1, vcc_lo
	v_sub_nc_u32_e32 v6, 0x3f1, v12
	v_add_nc_u32_e32 v12, 0xfffffc10, v12
	v_and_or_b32 v8, 0xffe, v11, v8
	v_med3_i32 v11, v13, 0, 13
	v_or_b32_e32 v13, 0x1000, v2
	v_med3_i32 v6, v6, 0, 13
	s_delay_alu instid0(VALU_DEP_4) | instskip(NEXT) | instid1(VALU_DEP_3)
	v_or_b32_e32 v14, 0x1000, v8
	v_lshrrev_b32_e32 v15, v11, v13
	s_delay_alu instid0(VALU_DEP_2) | instskip(NEXT) | instid1(VALU_DEP_2)
	v_lshrrev_b32_e32 v16, v6, v14
	v_lshlrev_b32_e32 v11, v11, v15
	s_delay_alu instid0(VALU_DEP_2) | instskip(NEXT) | instid1(VALU_DEP_2)
	v_lshlrev_b32_e32 v6, v6, v16
	v_cmp_ne_u32_e32 vcc_lo, v11, v13
	v_lshl_or_b32 v13, v10, 12, v2
	s_wait_alu 0xfffd
	v_cndmask_b32_e64 v11, 0, 1, vcc_lo
	v_cmp_ne_u32_e32 vcc_lo, v6, v14
	v_lshl_or_b32 v14, v12, 12, v8
	s_delay_alu instid0(VALU_DEP_3) | instskip(SKIP_3) | instid1(VALU_DEP_2)
	v_or_b32_e32 v11, v15, v11
	s_wait_alu 0xfffd
	v_cndmask_b32_e64 v6, 0, 1, vcc_lo
	v_cmp_gt_i32_e32 vcc_lo, 1, v10
	v_or_b32_e32 v6, v16, v6
	s_wait_alu 0xfffd
	v_cndmask_b32_e32 v11, v13, v11, vcc_lo
	v_cmp_gt_i32_e32 vcc_lo, 1, v12
	s_wait_alu 0xfffd
	s_delay_alu instid0(VALU_DEP_2) | instskip(SKIP_2) | instid1(VALU_DEP_3)
	v_dual_cndmask_b32 v6, v14, v6 :: v_dual_and_b32 v13, 7, v11
	v_cmp_ne_u32_e32 vcc_lo, 0, v2
	v_lshrrev_b32_e32 v11, 2, v11
	v_cmp_eq_u32_e64 s0, 3, v13
	s_delay_alu instid0(VALU_DEP_4)
	v_and_b32_e32 v14, 7, v6
	s_wait_alu 0xfffd
	v_cndmask_b32_e64 v2, 0, 1, vcc_lo
	v_cmp_ne_u32_e32 vcc_lo, 0, v8
	v_lshrrev_b32_e32 v6, 2, v6
	v_cmp_lt_i32_e64 s1, 5, v14
	v_cmp_eq_u32_e64 s2, 3, v14
	s_wait_alu 0xfffd
	v_cndmask_b32_e64 v8, 0, 1, vcc_lo
	v_cmp_lt_i32_e32 vcc_lo, 5, v13
	v_lshl_or_b32 v2, v2, 9, 0x7c00
	s_delay_alu instid0(VALU_DEP_3)
	v_lshl_or_b32 v8, v8, 9, 0x7c00
	s_or_b32 vcc_lo, s0, vcc_lo
	s_wait_alu 0xfffe
	v_add_co_ci_u32_e32 v11, vcc_lo, 0, v11, vcc_lo
	s_or_b32 vcc_lo, s2, s1
	s_wait_alu 0xfffe
	v_add_co_ci_u32_e32 v6, vcc_lo, 0, v6, vcc_lo
	v_cmp_gt_i32_e32 vcc_lo, 31, v10
	s_wait_alu 0xfffd
	v_cndmask_b32_e32 v11, 0x7c00, v11, vcc_lo
	v_cmp_gt_i32_e32 vcc_lo, 31, v12
	s_wait_alu 0xfffd
	v_cndmask_b32_e32 v6, 0x7c00, v6, vcc_lo
	v_cmp_eq_u32_e32 vcc_lo, 0x40f, v10
	s_wait_alu 0xfffd
	v_cndmask_b32_e32 v2, v11, v2, vcc_lo
	v_cmp_eq_u32_e32 vcc_lo, 0x40f, v12
	s_delay_alu instid0(VALU_DEP_2)
	v_and_or_b32 v2, 0x8000, v3, v2
	s_wait_alu 0xfffd
	v_cndmask_b32_e32 v6, v6, v8, vcc_lo
	v_add_co_u32 v0, vcc_lo, v0, s6
	s_wait_alu 0xfffd
	v_add_co_ci_u32_e32 v1, vcc_lo, s7, v1, vcc_lo
	s_delay_alu instid0(VALU_DEP_3) | instskip(SKIP_1) | instid1(VALU_DEP_1)
	v_and_or_b32 v3, 0x8000, v9, v6
	v_and_b32_e32 v2, 0xffff, v2
	v_lshl_or_b32 v2, v3, 16, v2
	global_store_b32 v[0:1], v2, off
	global_load_b32 v6, v[4:5], off offset:1668
	ds_load_2addr_b32 v[2:3], v7 offset0:161 offset1:203
	s_wait_dscnt 0x0
	v_lshrrev_b32_e32 v7, 16, v2
	s_wait_loadcnt 0x0
	v_lshrrev_b32_e32 v8, 16, v6
	s_delay_alu instid0(VALU_DEP_1) | instskip(SKIP_1) | instid1(VALU_DEP_2)
	v_mul_f16_e32 v9, v7, v8
	v_mul_f16_e32 v8, v2, v8
	v_fmac_f16_e32 v9, v2, v6
	s_delay_alu instid0(VALU_DEP_2) | instskip(NEXT) | instid1(VALU_DEP_2)
	v_fma_f16 v2, v6, v7, -v8
	v_cvt_f32_f16_e32 v6, v9
	s_delay_alu instid0(VALU_DEP_2) | instskip(NEXT) | instid1(VALU_DEP_2)
	v_cvt_f32_f16_e32 v2, v2
	v_cvt_f64_f32_e32 v[6:7], v6
	s_delay_alu instid0(VALU_DEP_2) | instskip(NEXT) | instid1(VALU_DEP_2)
	v_cvt_f64_f32_e32 v[8:9], v2
	v_mul_f64_e32 v[6:7], s[8:9], v[6:7]
	s_delay_alu instid0(VALU_DEP_2) | instskip(NEXT) | instid1(VALU_DEP_2)
	v_mul_f64_e32 v[8:9], s[8:9], v[8:9]
	v_and_or_b32 v2, 0x1ff, v7, v6
	s_delay_alu instid0(VALU_DEP_2)
	v_and_or_b32 v8, 0x1ff, v9, v8
	v_lshrrev_b32_e32 v6, 8, v7
	v_bfe_u32 v10, v7, 20, 11
	v_lshrrev_b32_e32 v11, 8, v9
	v_cmp_ne_u32_e32 vcc_lo, 0, v2
	v_bfe_u32 v12, v9, 20, 11
	v_lshrrev_b32_e32 v7, 16, v7
	v_sub_nc_u32_e32 v13, 0x3f1, v10
	v_add_nc_u32_e32 v10, 0xfffffc10, v10
	s_wait_alu 0xfffd
	v_cndmask_b32_e64 v2, 0, 1, vcc_lo
	v_cmp_ne_u32_e32 vcc_lo, 0, v8
	v_lshrrev_b32_e32 v9, 16, v9
	s_delay_alu instid0(VALU_DEP_3) | instskip(SKIP_4) | instid1(VALU_DEP_3)
	v_and_or_b32 v2, 0xffe, v6, v2
	s_wait_alu 0xfffd
	v_cndmask_b32_e64 v8, 0, 1, vcc_lo
	v_sub_nc_u32_e32 v6, 0x3f1, v12
	v_add_nc_u32_e32 v12, 0xfffffc10, v12
	v_and_or_b32 v8, 0xffe, v11, v8
	v_med3_i32 v11, v13, 0, 13
	v_or_b32_e32 v13, 0x1000, v2
	v_med3_i32 v6, v6, 0, 13
	s_delay_alu instid0(VALU_DEP_4) | instskip(NEXT) | instid1(VALU_DEP_3)
	v_or_b32_e32 v14, 0x1000, v8
	v_lshrrev_b32_e32 v15, v11, v13
	s_delay_alu instid0(VALU_DEP_2) | instskip(NEXT) | instid1(VALU_DEP_2)
	v_lshrrev_b32_e32 v16, v6, v14
	v_lshlrev_b32_e32 v11, v11, v15
	s_delay_alu instid0(VALU_DEP_2) | instskip(NEXT) | instid1(VALU_DEP_2)
	v_lshlrev_b32_e32 v6, v6, v16
	v_cmp_ne_u32_e32 vcc_lo, v11, v13
	v_lshl_or_b32 v13, v10, 12, v2
	s_wait_alu 0xfffd
	v_cndmask_b32_e64 v11, 0, 1, vcc_lo
	v_cmp_ne_u32_e32 vcc_lo, v6, v14
	v_lshl_or_b32 v14, v12, 12, v8
	s_delay_alu instid0(VALU_DEP_3) | instskip(SKIP_3) | instid1(VALU_DEP_2)
	v_or_b32_e32 v11, v15, v11
	s_wait_alu 0xfffd
	v_cndmask_b32_e64 v6, 0, 1, vcc_lo
	v_cmp_gt_i32_e32 vcc_lo, 1, v10
	v_or_b32_e32 v6, v16, v6
	s_wait_alu 0xfffd
	v_cndmask_b32_e32 v11, v13, v11, vcc_lo
	v_cmp_gt_i32_e32 vcc_lo, 1, v12
	s_wait_alu 0xfffd
	s_delay_alu instid0(VALU_DEP_2) | instskip(SKIP_2) | instid1(VALU_DEP_3)
	v_dual_cndmask_b32 v6, v14, v6 :: v_dual_and_b32 v13, 7, v11
	v_cmp_ne_u32_e32 vcc_lo, 0, v2
	v_lshrrev_b32_e32 v11, 2, v11
	v_cmp_eq_u32_e64 s0, 3, v13
	s_delay_alu instid0(VALU_DEP_4)
	v_and_b32_e32 v14, 7, v6
	s_wait_alu 0xfffd
	v_cndmask_b32_e64 v2, 0, 1, vcc_lo
	v_cmp_ne_u32_e32 vcc_lo, 0, v8
	v_lshrrev_b32_e32 v6, 2, v6
	v_cmp_lt_i32_e64 s1, 5, v14
	v_cmp_eq_u32_e64 s2, 3, v14
	s_wait_alu 0xfffd
	v_cndmask_b32_e64 v8, 0, 1, vcc_lo
	v_cmp_lt_i32_e32 vcc_lo, 5, v13
	v_lshl_or_b32 v2, v2, 9, 0x7c00
	s_delay_alu instid0(VALU_DEP_3)
	v_lshl_or_b32 v8, v8, 9, 0x7c00
	s_or_b32 vcc_lo, s0, vcc_lo
	s_wait_alu 0xfffe
	v_add_co_ci_u32_e32 v11, vcc_lo, 0, v11, vcc_lo
	s_or_b32 vcc_lo, s2, s1
	s_wait_alu 0xfffe
	v_add_co_ci_u32_e32 v6, vcc_lo, 0, v6, vcc_lo
	v_cmp_gt_i32_e32 vcc_lo, 31, v10
	s_wait_alu 0xfffd
	v_cndmask_b32_e32 v11, 0x7c00, v11, vcc_lo
	v_cmp_gt_i32_e32 vcc_lo, 31, v12
	s_wait_alu 0xfffd
	v_cndmask_b32_e32 v6, 0x7c00, v6, vcc_lo
	v_cmp_eq_u32_e32 vcc_lo, 0x40f, v10
	s_wait_alu 0xfffd
	v_cndmask_b32_e32 v2, v11, v2, vcc_lo
	v_cmp_eq_u32_e32 vcc_lo, 0x40f, v12
	s_delay_alu instid0(VALU_DEP_2)
	v_and_or_b32 v2, 0x8000, v7, v2
	s_wait_alu 0xfffd
	v_cndmask_b32_e32 v6, v6, v8, vcc_lo
	v_add_co_u32 v0, vcc_lo, v0, s6
	s_wait_alu 0xfffd
	v_add_co_ci_u32_e32 v1, vcc_lo, s7, v1, vcc_lo
	s_delay_alu instid0(VALU_DEP_3) | instskip(SKIP_1) | instid1(VALU_DEP_1)
	v_and_or_b32 v6, 0x8000, v9, v6
	v_and_b32_e32 v2, 0xffff, v2
	v_lshl_or_b32 v2, v6, 16, v2
	v_lshrrev_b32_e32 v6, 16, v3
	global_store_b32 v[0:1], v2, off
	global_load_b32 v2, v[4:5], off offset:1836
	s_wait_loadcnt 0x0
	v_lshrrev_b32_e32 v7, 16, v2
	s_delay_alu instid0(VALU_DEP_1) | instskip(SKIP_1) | instid1(VALU_DEP_2)
	v_mul_f16_e32 v8, v6, v7
	v_mul_f16_e32 v7, v3, v7
	v_fmac_f16_e32 v8, v3, v2
	s_delay_alu instid0(VALU_DEP_2) | instskip(NEXT) | instid1(VALU_DEP_2)
	v_fma_f16 v2, v2, v6, -v7
	v_cvt_f32_f16_e32 v3, v8
	s_delay_alu instid0(VALU_DEP_2) | instskip(NEXT) | instid1(VALU_DEP_2)
	v_cvt_f32_f16_e32 v6, v2
	v_cvt_f64_f32_e32 v[2:3], v3
	s_delay_alu instid0(VALU_DEP_2) | instskip(NEXT) | instid1(VALU_DEP_2)
	v_cvt_f64_f32_e32 v[6:7], v6
	v_mul_f64_e32 v[2:3], s[8:9], v[2:3]
	s_delay_alu instid0(VALU_DEP_2) | instskip(NEXT) | instid1(VALU_DEP_2)
	v_mul_f64_e32 v[6:7], s[8:9], v[6:7]
	v_and_or_b32 v2, 0x1ff, v3, v2
	s_delay_alu instid0(VALU_DEP_2)
	v_and_or_b32 v6, 0x1ff, v7, v6
	v_lshrrev_b32_e32 v8, 8, v3
	v_bfe_u32 v9, v3, 20, 11
	v_lshrrev_b32_e32 v10, 8, v7
	v_cmp_ne_u32_e32 vcc_lo, 0, v2
	v_bfe_u32 v11, v7, 20, 11
	v_lshrrev_b32_e32 v3, 16, v3
	v_sub_nc_u32_e32 v12, 0x3f1, v9
	v_add_nc_u32_e32 v9, 0xfffffc10, v9
	s_wait_alu 0xfffd
	v_cndmask_b32_e64 v2, 0, 1, vcc_lo
	v_cmp_ne_u32_e32 vcc_lo, 0, v6
	v_lshrrev_b32_e32 v7, 16, v7
	s_delay_alu instid0(VALU_DEP_3) | instskip(SKIP_4) | instid1(VALU_DEP_3)
	v_and_or_b32 v2, 0xffe, v8, v2
	s_wait_alu 0xfffd
	v_cndmask_b32_e64 v6, 0, 1, vcc_lo
	v_sub_nc_u32_e32 v8, 0x3f1, v11
	v_add_nc_u32_e32 v11, 0xfffffc10, v11
	v_and_or_b32 v6, 0xffe, v10, v6
	v_med3_i32 v10, v12, 0, 13
	v_or_b32_e32 v12, 0x1000, v2
	v_med3_i32 v8, v8, 0, 13
	s_delay_alu instid0(VALU_DEP_4) | instskip(NEXT) | instid1(VALU_DEP_3)
	v_or_b32_e32 v13, 0x1000, v6
	v_lshrrev_b32_e32 v14, v10, v12
	s_delay_alu instid0(VALU_DEP_2) | instskip(NEXT) | instid1(VALU_DEP_2)
	v_lshrrev_b32_e32 v15, v8, v13
	v_lshlrev_b32_e32 v10, v10, v14
	s_delay_alu instid0(VALU_DEP_2) | instskip(NEXT) | instid1(VALU_DEP_2)
	v_lshlrev_b32_e32 v8, v8, v15
	v_cmp_ne_u32_e32 vcc_lo, v10, v12
	v_lshl_or_b32 v12, v9, 12, v2
	s_wait_alu 0xfffd
	v_cndmask_b32_e64 v10, 0, 1, vcc_lo
	v_cmp_ne_u32_e32 vcc_lo, v8, v13
	v_lshl_or_b32 v13, v11, 12, v6
	s_delay_alu instid0(VALU_DEP_3) | instskip(SKIP_3) | instid1(VALU_DEP_2)
	v_or_b32_e32 v10, v14, v10
	s_wait_alu 0xfffd
	v_cndmask_b32_e64 v8, 0, 1, vcc_lo
	v_cmp_gt_i32_e32 vcc_lo, 1, v9
	v_or_b32_e32 v8, v15, v8
	s_wait_alu 0xfffd
	v_cndmask_b32_e32 v10, v12, v10, vcc_lo
	v_cmp_gt_i32_e32 vcc_lo, 1, v11
	s_delay_alu instid0(VALU_DEP_2)
	v_and_b32_e32 v12, 7, v10
	s_wait_alu 0xfffd
	v_cndmask_b32_e32 v8, v13, v8, vcc_lo
	v_cmp_ne_u32_e32 vcc_lo, 0, v2
	v_lshrrev_b32_e32 v10, 2, v10
	v_cmp_eq_u32_e64 s0, 3, v12
	s_delay_alu instid0(VALU_DEP_4)
	v_and_b32_e32 v13, 7, v8
	s_wait_alu 0xfffd
	v_cndmask_b32_e64 v2, 0, 1, vcc_lo
	v_cmp_ne_u32_e32 vcc_lo, 0, v6
	v_lshrrev_b32_e32 v8, 2, v8
	v_cmp_lt_i32_e64 s1, 5, v13
	v_cmp_eq_u32_e64 s2, 3, v13
	s_wait_alu 0xfffd
	v_cndmask_b32_e64 v6, 0, 1, vcc_lo
	v_cmp_lt_i32_e32 vcc_lo, 5, v12
	v_lshl_or_b32 v2, v2, 9, 0x7c00
	s_delay_alu instid0(VALU_DEP_3)
	v_lshl_or_b32 v6, v6, 9, 0x7c00
	s_or_b32 vcc_lo, s0, vcc_lo
	s_wait_alu 0xfffe
	v_add_co_ci_u32_e32 v10, vcc_lo, 0, v10, vcc_lo
	s_or_b32 vcc_lo, s2, s1
	s_wait_alu 0xfffe
	v_add_co_ci_u32_e32 v8, vcc_lo, 0, v8, vcc_lo
	v_cmp_gt_i32_e32 vcc_lo, 31, v9
	s_wait_alu 0xfffd
	v_cndmask_b32_e32 v10, 0x7c00, v10, vcc_lo
	v_cmp_gt_i32_e32 vcc_lo, 31, v11
	s_wait_alu 0xfffd
	v_cndmask_b32_e32 v8, 0x7c00, v8, vcc_lo
	v_cmp_eq_u32_e32 vcc_lo, 0x40f, v9
	s_wait_alu 0xfffd
	v_cndmask_b32_e32 v2, v10, v2, vcc_lo
	v_cmp_eq_u32_e32 vcc_lo, 0x40f, v11
	s_delay_alu instid0(VALU_DEP_2)
	v_and_or_b32 v2, 0x8000, v3, v2
	s_wait_alu 0xfffd
	v_cndmask_b32_e32 v6, v8, v6, vcc_lo
	v_add_co_u32 v0, vcc_lo, v0, s6
	s_wait_alu 0xfffd
	v_add_co_ci_u32_e32 v1, vcc_lo, s7, v1, vcc_lo
	s_delay_alu instid0(VALU_DEP_3) | instskip(SKIP_1) | instid1(VALU_DEP_1)
	v_and_or_b32 v3, 0x8000, v7, v6
	v_and_b32_e32 v2, 0xffff, v2
	v_lshl_or_b32 v2, v3, 16, v2
	global_store_b32 v[0:1], v2, off
	global_load_b32 v6, v[4:5], off offset:2004
	v_add_nc_u32_e32 v2, 0x600, v43
	ds_load_2addr_b32 v[2:3], v2 offset0:117 offset1:159
	s_wait_dscnt 0x0
	v_lshrrev_b32_e32 v7, 16, v2
	s_wait_loadcnt 0x0
	v_lshrrev_b32_e32 v8, 16, v6
	s_delay_alu instid0(VALU_DEP_1) | instskip(SKIP_1) | instid1(VALU_DEP_2)
	v_mul_f16_e32 v9, v7, v8
	v_mul_f16_e32 v8, v2, v8
	v_fmac_f16_e32 v9, v2, v6
	s_delay_alu instid0(VALU_DEP_2) | instskip(NEXT) | instid1(VALU_DEP_2)
	v_fma_f16 v2, v6, v7, -v8
	v_cvt_f32_f16_e32 v6, v9
	s_delay_alu instid0(VALU_DEP_2) | instskip(NEXT) | instid1(VALU_DEP_2)
	v_cvt_f32_f16_e32 v2, v2
	v_cvt_f64_f32_e32 v[6:7], v6
	s_delay_alu instid0(VALU_DEP_2) | instskip(NEXT) | instid1(VALU_DEP_2)
	v_cvt_f64_f32_e32 v[8:9], v2
	v_mul_f64_e32 v[6:7], s[8:9], v[6:7]
	s_delay_alu instid0(VALU_DEP_2) | instskip(NEXT) | instid1(VALU_DEP_2)
	v_mul_f64_e32 v[8:9], s[8:9], v[8:9]
	v_and_or_b32 v2, 0x1ff, v7, v6
	s_delay_alu instid0(VALU_DEP_2)
	v_and_or_b32 v8, 0x1ff, v9, v8
	v_lshrrev_b32_e32 v6, 8, v7
	v_bfe_u32 v10, v7, 20, 11
	v_lshrrev_b32_e32 v11, 8, v9
	v_cmp_ne_u32_e32 vcc_lo, 0, v2
	v_bfe_u32 v12, v9, 20, 11
	v_lshrrev_b32_e32 v7, 16, v7
	v_sub_nc_u32_e32 v13, 0x3f1, v10
	v_add_nc_u32_e32 v10, 0xfffffc10, v10
	s_wait_alu 0xfffd
	v_cndmask_b32_e64 v2, 0, 1, vcc_lo
	v_cmp_ne_u32_e32 vcc_lo, 0, v8
	v_lshrrev_b32_e32 v9, 16, v9
	s_delay_alu instid0(VALU_DEP_3) | instskip(SKIP_4) | instid1(VALU_DEP_3)
	v_and_or_b32 v2, 0xffe, v6, v2
	s_wait_alu 0xfffd
	v_cndmask_b32_e64 v8, 0, 1, vcc_lo
	v_sub_nc_u32_e32 v6, 0x3f1, v12
	v_add_nc_u32_e32 v12, 0xfffffc10, v12
	v_and_or_b32 v8, 0xffe, v11, v8
	v_med3_i32 v11, v13, 0, 13
	v_or_b32_e32 v13, 0x1000, v2
	v_med3_i32 v6, v6, 0, 13
	s_delay_alu instid0(VALU_DEP_4) | instskip(NEXT) | instid1(VALU_DEP_3)
	v_or_b32_e32 v14, 0x1000, v8
	v_lshrrev_b32_e32 v15, v11, v13
	s_delay_alu instid0(VALU_DEP_2) | instskip(NEXT) | instid1(VALU_DEP_2)
	v_lshrrev_b32_e32 v16, v6, v14
	v_lshlrev_b32_e32 v11, v11, v15
	s_delay_alu instid0(VALU_DEP_2) | instskip(NEXT) | instid1(VALU_DEP_2)
	v_lshlrev_b32_e32 v6, v6, v16
	v_cmp_ne_u32_e32 vcc_lo, v11, v13
	v_lshl_or_b32 v13, v10, 12, v2
	s_wait_alu 0xfffd
	v_cndmask_b32_e64 v11, 0, 1, vcc_lo
	v_cmp_ne_u32_e32 vcc_lo, v6, v14
	v_lshl_or_b32 v14, v12, 12, v8
	s_delay_alu instid0(VALU_DEP_3) | instskip(SKIP_3) | instid1(VALU_DEP_2)
	v_or_b32_e32 v11, v15, v11
	s_wait_alu 0xfffd
	v_cndmask_b32_e64 v6, 0, 1, vcc_lo
	v_cmp_gt_i32_e32 vcc_lo, 1, v10
	v_or_b32_e32 v6, v16, v6
	s_wait_alu 0xfffd
	v_cndmask_b32_e32 v11, v13, v11, vcc_lo
	v_cmp_gt_i32_e32 vcc_lo, 1, v12
	s_wait_alu 0xfffd
	s_delay_alu instid0(VALU_DEP_2) | instskip(SKIP_2) | instid1(VALU_DEP_3)
	v_dual_cndmask_b32 v6, v14, v6 :: v_dual_and_b32 v13, 7, v11
	v_cmp_ne_u32_e32 vcc_lo, 0, v2
	v_lshrrev_b32_e32 v11, 2, v11
	v_cmp_eq_u32_e64 s0, 3, v13
	s_delay_alu instid0(VALU_DEP_4)
	v_and_b32_e32 v14, 7, v6
	s_wait_alu 0xfffd
	v_cndmask_b32_e64 v2, 0, 1, vcc_lo
	v_cmp_ne_u32_e32 vcc_lo, 0, v8
	v_lshrrev_b32_e32 v6, 2, v6
	v_cmp_lt_i32_e64 s1, 5, v14
	v_cmp_eq_u32_e64 s2, 3, v14
	s_wait_alu 0xfffd
	v_cndmask_b32_e64 v8, 0, 1, vcc_lo
	v_cmp_lt_i32_e32 vcc_lo, 5, v13
	v_lshl_or_b32 v2, v2, 9, 0x7c00
	s_delay_alu instid0(VALU_DEP_3)
	v_lshl_or_b32 v8, v8, 9, 0x7c00
	s_or_b32 vcc_lo, s0, vcc_lo
	s_wait_alu 0xfffe
	v_add_co_ci_u32_e32 v11, vcc_lo, 0, v11, vcc_lo
	s_or_b32 vcc_lo, s2, s1
	s_wait_alu 0xfffe
	v_add_co_ci_u32_e32 v6, vcc_lo, 0, v6, vcc_lo
	v_cmp_gt_i32_e32 vcc_lo, 31, v10
	s_wait_alu 0xfffd
	v_cndmask_b32_e32 v11, 0x7c00, v11, vcc_lo
	v_cmp_gt_i32_e32 vcc_lo, 31, v12
	s_wait_alu 0xfffd
	v_cndmask_b32_e32 v6, 0x7c00, v6, vcc_lo
	v_cmp_eq_u32_e32 vcc_lo, 0x40f, v10
	s_wait_alu 0xfffd
	v_cndmask_b32_e32 v2, v11, v2, vcc_lo
	v_cmp_eq_u32_e32 vcc_lo, 0x40f, v12
	s_delay_alu instid0(VALU_DEP_2)
	v_and_or_b32 v2, 0x8000, v7, v2
	s_wait_alu 0xfffd
	v_cndmask_b32_e32 v6, v6, v8, vcc_lo
	v_add_co_u32 v0, vcc_lo, v0, s6
	s_wait_alu 0xfffd
	v_add_co_ci_u32_e32 v1, vcc_lo, s7, v1, vcc_lo
	s_delay_alu instid0(VALU_DEP_3) | instskip(SKIP_1) | instid1(VALU_DEP_1)
	v_and_or_b32 v6, 0x8000, v9, v6
	v_and_b32_e32 v2, 0xffff, v2
	v_lshl_or_b32 v2, v6, 16, v2
	global_store_b32 v[0:1], v2, off
	global_load_b32 v2, v[4:5], off offset:2172
	v_lshrrev_b32_e32 v4, 16, v3
	s_wait_loadcnt 0x0
	v_lshrrev_b32_e32 v5, 16, v2
	s_delay_alu instid0(VALU_DEP_1) | instskip(SKIP_1) | instid1(VALU_DEP_2)
	v_mul_f16_e32 v6, v4, v5
	v_mul_f16_e32 v5, v3, v5
	v_fmac_f16_e32 v6, v3, v2
	s_delay_alu instid0(VALU_DEP_2) | instskip(NEXT) | instid1(VALU_DEP_2)
	v_fma_f16 v2, v2, v4, -v5
	v_cvt_f32_f16_e32 v3, v6
	s_delay_alu instid0(VALU_DEP_2) | instskip(NEXT) | instid1(VALU_DEP_2)
	v_cvt_f32_f16_e32 v4, v2
	v_cvt_f64_f32_e32 v[2:3], v3
	s_delay_alu instid0(VALU_DEP_2) | instskip(NEXT) | instid1(VALU_DEP_2)
	v_cvt_f64_f32_e32 v[4:5], v4
	v_mul_f64_e32 v[2:3], s[8:9], v[2:3]
	s_delay_alu instid0(VALU_DEP_2) | instskip(NEXT) | instid1(VALU_DEP_2)
	v_mul_f64_e32 v[4:5], s[8:9], v[4:5]
	v_and_or_b32 v2, 0x1ff, v3, v2
	s_delay_alu instid0(VALU_DEP_2)
	v_and_or_b32 v4, 0x1ff, v5, v4
	v_lshrrev_b32_e32 v6, 8, v3
	v_bfe_u32 v7, v3, 20, 11
	v_lshrrev_b32_e32 v8, 8, v5
	v_cmp_ne_u32_e32 vcc_lo, 0, v2
	v_bfe_u32 v9, v5, 20, 11
	v_lshrrev_b32_e32 v3, 16, v3
	v_sub_nc_u32_e32 v10, 0x3f1, v7
	v_add_nc_u32_e32 v7, 0xfffffc10, v7
	s_wait_alu 0xfffd
	v_cndmask_b32_e64 v2, 0, 1, vcc_lo
	v_cmp_ne_u32_e32 vcc_lo, 0, v4
	v_lshrrev_b32_e32 v5, 16, v5
	s_delay_alu instid0(VALU_DEP_3) | instskip(SKIP_4) | instid1(VALU_DEP_3)
	v_and_or_b32 v2, 0xffe, v6, v2
	s_wait_alu 0xfffd
	v_cndmask_b32_e64 v4, 0, 1, vcc_lo
	v_sub_nc_u32_e32 v6, 0x3f1, v9
	v_add_nc_u32_e32 v9, 0xfffffc10, v9
	v_and_or_b32 v4, 0xffe, v8, v4
	v_med3_i32 v8, v10, 0, 13
	v_or_b32_e32 v10, 0x1000, v2
	v_med3_i32 v6, v6, 0, 13
	s_delay_alu instid0(VALU_DEP_4) | instskip(NEXT) | instid1(VALU_DEP_3)
	v_or_b32_e32 v11, 0x1000, v4
	v_lshrrev_b32_e32 v12, v8, v10
	s_delay_alu instid0(VALU_DEP_2) | instskip(NEXT) | instid1(VALU_DEP_2)
	v_lshrrev_b32_e32 v13, v6, v11
	v_lshlrev_b32_e32 v8, v8, v12
	s_delay_alu instid0(VALU_DEP_2) | instskip(NEXT) | instid1(VALU_DEP_2)
	v_lshlrev_b32_e32 v6, v6, v13
	v_cmp_ne_u32_e32 vcc_lo, v8, v10
	v_lshl_or_b32 v10, v7, 12, v2
	s_wait_alu 0xfffd
	v_cndmask_b32_e64 v8, 0, 1, vcc_lo
	v_cmp_ne_u32_e32 vcc_lo, v6, v11
	v_lshl_or_b32 v11, v9, 12, v4
	s_delay_alu instid0(VALU_DEP_3) | instskip(SKIP_3) | instid1(VALU_DEP_2)
	v_or_b32_e32 v8, v12, v8
	s_wait_alu 0xfffd
	v_cndmask_b32_e64 v6, 0, 1, vcc_lo
	v_cmp_gt_i32_e32 vcc_lo, 1, v7
	v_or_b32_e32 v6, v13, v6
	s_wait_alu 0xfffd
	v_cndmask_b32_e32 v8, v10, v8, vcc_lo
	v_cmp_gt_i32_e32 vcc_lo, 1, v9
	s_delay_alu instid0(VALU_DEP_2)
	v_and_b32_e32 v10, 7, v8
	s_wait_alu 0xfffd
	v_cndmask_b32_e32 v6, v11, v6, vcc_lo
	v_cmp_ne_u32_e32 vcc_lo, 0, v2
	v_lshrrev_b32_e32 v8, 2, v8
	v_cmp_eq_u32_e64 s0, 3, v10
	s_delay_alu instid0(VALU_DEP_4)
	v_and_b32_e32 v11, 7, v6
	s_wait_alu 0xfffd
	v_cndmask_b32_e64 v2, 0, 1, vcc_lo
	v_cmp_ne_u32_e32 vcc_lo, 0, v4
	v_lshrrev_b32_e32 v6, 2, v6
	v_cmp_lt_i32_e64 s1, 5, v11
	v_cmp_eq_u32_e64 s2, 3, v11
	s_wait_alu 0xfffd
	v_cndmask_b32_e64 v4, 0, 1, vcc_lo
	v_cmp_lt_i32_e32 vcc_lo, 5, v10
	v_lshl_or_b32 v2, v2, 9, 0x7c00
	s_delay_alu instid0(VALU_DEP_3)
	v_lshl_or_b32 v4, v4, 9, 0x7c00
	s_or_b32 vcc_lo, s0, vcc_lo
	s_wait_alu 0xfffe
	v_add_co_ci_u32_e32 v8, vcc_lo, 0, v8, vcc_lo
	s_or_b32 vcc_lo, s2, s1
	s_wait_alu 0xfffe
	v_add_co_ci_u32_e32 v6, vcc_lo, 0, v6, vcc_lo
	v_cmp_gt_i32_e32 vcc_lo, 31, v7
	s_wait_alu 0xfffd
	v_cndmask_b32_e32 v8, 0x7c00, v8, vcc_lo
	v_cmp_gt_i32_e32 vcc_lo, 31, v9
	s_wait_alu 0xfffd
	v_cndmask_b32_e32 v6, 0x7c00, v6, vcc_lo
	v_cmp_eq_u32_e32 vcc_lo, 0x40f, v7
	s_wait_alu 0xfffd
	v_cndmask_b32_e32 v2, v8, v2, vcc_lo
	v_cmp_eq_u32_e32 vcc_lo, 0x40f, v9
	s_delay_alu instid0(VALU_DEP_2)
	v_and_or_b32 v2, 0x8000, v3, v2
	s_wait_alu 0xfffd
	v_cndmask_b32_e32 v4, v6, v4, vcc_lo
	v_add_co_u32 v0, vcc_lo, v0, s6
	s_wait_alu 0xfffd
	v_add_co_ci_u32_e32 v1, vcc_lo, s7, v1, vcc_lo
	s_delay_alu instid0(VALU_DEP_3) | instskip(SKIP_1) | instid1(VALU_DEP_1)
	v_and_or_b32 v3, 0x8000, v5, v4
	v_and_b32_e32 v2, 0xffff, v2
	v_lshl_or_b32 v2, v3, 16, v2
	global_store_b32 v[0:1], v2, off
.LBB0_23:
	s_nop 0
	s_sendmsg sendmsg(MSG_DEALLOC_VGPRS)
	s_endpgm
	.section	.rodata,"a",@progbits
	.p2align	6, 0x0
	.amdhsa_kernel bluestein_single_fwd_len546_dim1_half_op_CI_CI
		.amdhsa_group_segment_fixed_size 6552
		.amdhsa_private_segment_fixed_size 0
		.amdhsa_kernarg_size 104
		.amdhsa_user_sgpr_count 2
		.amdhsa_user_sgpr_dispatch_ptr 0
		.amdhsa_user_sgpr_queue_ptr 0
		.amdhsa_user_sgpr_kernarg_segment_ptr 1
		.amdhsa_user_sgpr_dispatch_id 0
		.amdhsa_user_sgpr_private_segment_size 0
		.amdhsa_wavefront_size32 1
		.amdhsa_uses_dynamic_stack 0
		.amdhsa_enable_private_segment 0
		.amdhsa_system_sgpr_workgroup_id_x 1
		.amdhsa_system_sgpr_workgroup_id_y 0
		.amdhsa_system_sgpr_workgroup_id_z 0
		.amdhsa_system_sgpr_workgroup_info 0
		.amdhsa_system_vgpr_workitem_id 0
		.amdhsa_next_free_vgpr 202
		.amdhsa_next_free_sgpr 16
		.amdhsa_reserve_vcc 1
		.amdhsa_float_round_mode_32 0
		.amdhsa_float_round_mode_16_64 0
		.amdhsa_float_denorm_mode_32 3
		.amdhsa_float_denorm_mode_16_64 3
		.amdhsa_fp16_overflow 0
		.amdhsa_workgroup_processor_mode 1
		.amdhsa_memory_ordered 1
		.amdhsa_forward_progress 0
		.amdhsa_round_robin_scheduling 0
		.amdhsa_exception_fp_ieee_invalid_op 0
		.amdhsa_exception_fp_denorm_src 0
		.amdhsa_exception_fp_ieee_div_zero 0
		.amdhsa_exception_fp_ieee_overflow 0
		.amdhsa_exception_fp_ieee_underflow 0
		.amdhsa_exception_fp_ieee_inexact 0
		.amdhsa_exception_int_div_zero 0
	.end_amdhsa_kernel
	.text
.Lfunc_end0:
	.size	bluestein_single_fwd_len546_dim1_half_op_CI_CI, .Lfunc_end0-bluestein_single_fwd_len546_dim1_half_op_CI_CI
                                        ; -- End function
	.section	.AMDGPU.csdata,"",@progbits
; Kernel info:
; codeLenInByte = 45320
; NumSgprs: 18
; NumVgprs: 202
; ScratchSize: 0
; MemoryBound: 0
; FloatMode: 240
; IeeeMode: 1
; LDSByteSize: 6552 bytes/workgroup (compile time only)
; SGPRBlocks: 2
; VGPRBlocks: 25
; NumSGPRsForWavesPerEU: 18
; NumVGPRsForWavesPerEU: 202
; Occupancy: 7
; WaveLimiterHint : 1
; COMPUTE_PGM_RSRC2:SCRATCH_EN: 0
; COMPUTE_PGM_RSRC2:USER_SGPR: 2
; COMPUTE_PGM_RSRC2:TRAP_HANDLER: 0
; COMPUTE_PGM_RSRC2:TGID_X_EN: 1
; COMPUTE_PGM_RSRC2:TGID_Y_EN: 0
; COMPUTE_PGM_RSRC2:TGID_Z_EN: 0
; COMPUTE_PGM_RSRC2:TIDIG_COMP_CNT: 0
	.text
	.p2alignl 7, 3214868480
	.fill 96, 4, 3214868480
	.type	__hip_cuid_7005057abdf9de05,@object ; @__hip_cuid_7005057abdf9de05
	.section	.bss,"aw",@nobits
	.globl	__hip_cuid_7005057abdf9de05
__hip_cuid_7005057abdf9de05:
	.byte	0                               ; 0x0
	.size	__hip_cuid_7005057abdf9de05, 1

	.ident	"AMD clang version 19.0.0git (https://github.com/RadeonOpenCompute/llvm-project roc-6.4.0 25133 c7fe45cf4b819c5991fe208aaa96edf142730f1d)"
	.section	".note.GNU-stack","",@progbits
	.addrsig
	.addrsig_sym __hip_cuid_7005057abdf9de05
	.amdgpu_metadata
---
amdhsa.kernels:
  - .args:
      - .actual_access:  read_only
        .address_space:  global
        .offset:         0
        .size:           8
        .value_kind:     global_buffer
      - .actual_access:  read_only
        .address_space:  global
        .offset:         8
        .size:           8
        .value_kind:     global_buffer
      - .actual_access:  read_only
        .address_space:  global
        .offset:         16
        .size:           8
        .value_kind:     global_buffer
      - .actual_access:  read_only
        .address_space:  global
        .offset:         24
        .size:           8
        .value_kind:     global_buffer
      - .actual_access:  read_only
        .address_space:  global
        .offset:         32
        .size:           8
        .value_kind:     global_buffer
      - .offset:         40
        .size:           8
        .value_kind:     by_value
      - .address_space:  global
        .offset:         48
        .size:           8
        .value_kind:     global_buffer
      - .address_space:  global
        .offset:         56
        .size:           8
        .value_kind:     global_buffer
      - .address_space:  global
        .offset:         64
        .size:           8
        .value_kind:     global_buffer
      - .address_space:  global
        .offset:         72
        .size:           8
        .value_kind:     global_buffer
      - .offset:         80
        .size:           4
        .value_kind:     by_value
      - .address_space:  global
        .offset:         88
        .size:           8
        .value_kind:     global_buffer
      - .address_space:  global
        .offset:         96
        .size:           8
        .value_kind:     global_buffer
    .group_segment_fixed_size: 6552
    .kernarg_segment_align: 8
    .kernarg_segment_size: 104
    .language:       OpenCL C
    .language_version:
      - 2
      - 0
    .max_flat_workgroup_size: 117
    .name:           bluestein_single_fwd_len546_dim1_half_op_CI_CI
    .private_segment_fixed_size: 0
    .sgpr_count:     18
    .sgpr_spill_count: 0
    .symbol:         bluestein_single_fwd_len546_dim1_half_op_CI_CI.kd
    .uniform_work_group_size: 1
    .uses_dynamic_stack: false
    .vgpr_count:     202
    .vgpr_spill_count: 0
    .wavefront_size: 32
    .workgroup_processor_mode: 1
amdhsa.target:   amdgcn-amd-amdhsa--gfx1201
amdhsa.version:
  - 1
  - 2
...

	.end_amdgpu_metadata
